;; amdgpu-corpus repo=zjin-lcf/HeCBench kind=compiled arch=gfx906 opt=O3
	.amdgcn_target "amdgcn-amd-amdhsa--gfx906"
	.amdhsa_code_object_version 6
	.text
	.protected	_Z4initv                ; -- Begin function _Z4initv
	.globl	_Z4initv
	.p2align	8
	.type	_Z4initv,@function
_Z4initv:                               ; @_Z4initv
; %bb.0:
	s_load_dword s0, s[4:5], 0xc
	s_waitcnt lgkmcnt(0)
	s_and_b32 s0, s0, 0xffff
	s_mul_i32 s6, s6, s0
	v_add_u32_e32 v0, s6, v0
	s_movk_i32 s0, 0x400
	v_cmp_gt_i32_e32 vcc, s0, v0
	s_and_saveexec_b64 s[0:1], vcc
	s_cbranch_execz .LBB0_2
; %bb.1:
	v_ashrrev_i32_e32 v1, 31, v0
	v_lshlrev_b64 v[0:1], 2, v[0:1]
	s_getpc_b64 s[0:1]
	s_add_u32 s0, s0, row_of_star_at_column@rel32@lo+4
	s_addc_u32 s1, s1, row_of_star_at_column@rel32@hi+12
	v_mov_b32_e32 v3, s1
	v_add_co_u32_e32 v2, vcc, s0, v0
	v_addc_co_u32_e32 v3, vcc, v3, v1, vcc
	s_getpc_b64 s[0:1]
	s_add_u32 s0, s0, cover_column@rel32@lo+4
	s_addc_u32 s1, s1, cover_column@rel32@hi+12
	v_mov_b32_e32 v5, s1
	v_add_co_u32_e32 v4, vcc, s0, v0
	v_addc_co_u32_e32 v5, vcc, v5, v1, vcc
	s_getpc_b64 s[0:1]
	s_add_u32 s0, s0, column_of_star_at_row@rel32@lo+4
	s_addc_u32 s1, s1, column_of_star_at_row@rel32@hi+12
	v_mov_b32_e32 v7, s1
	v_add_co_u32_e32 v6, vcc, s0, v0
	v_addc_co_u32_e32 v7, vcc, v7, v1, vcc
	s_getpc_b64 s[0:1]
	s_add_u32 s0, s0, cover_row@rel32@lo+4
	s_addc_u32 s1, s1, cover_row@rel32@hi+12
	v_mov_b32_e32 v8, s1
	v_add_co_u32_e32 v0, vcc, s0, v0
	v_addc_co_u32_e32 v1, vcc, v8, v1, vcc
	v_mov_b32_e32 v8, 0
	global_store_dword v[0:1], v8, off
	v_mov_b32_e32 v0, -1
	global_store_dword v[6:7], v0, off
	global_store_dword v[4:5], v8, off
	;; [unrolled: 1-line block ×3, first 2 shown]
.LBB0_2:
	s_endpgm
	.section	.rodata,"a",@progbits
	.p2align	6, 0x0
	.amdhsa_kernel _Z4initv
		.amdhsa_group_segment_fixed_size 0
		.amdhsa_private_segment_fixed_size 0
		.amdhsa_kernarg_size 256
		.amdhsa_user_sgpr_count 6
		.amdhsa_user_sgpr_private_segment_buffer 1
		.amdhsa_user_sgpr_dispatch_ptr 0
		.amdhsa_user_sgpr_queue_ptr 0
		.amdhsa_user_sgpr_kernarg_segment_ptr 1
		.amdhsa_user_sgpr_dispatch_id 0
		.amdhsa_user_sgpr_flat_scratch_init 0
		.amdhsa_user_sgpr_private_segment_size 0
		.amdhsa_uses_dynamic_stack 0
		.amdhsa_system_sgpr_private_segment_wavefront_offset 0
		.amdhsa_system_sgpr_workgroup_id_x 1
		.amdhsa_system_sgpr_workgroup_id_y 0
		.amdhsa_system_sgpr_workgroup_id_z 0
		.amdhsa_system_sgpr_workgroup_info 0
		.amdhsa_system_vgpr_workitem_id 0
		.amdhsa_next_free_vgpr 9
		.amdhsa_next_free_sgpr 7
		.amdhsa_reserve_vcc 1
		.amdhsa_reserve_flat_scratch 0
		.amdhsa_float_round_mode_32 0
		.amdhsa_float_round_mode_16_64 0
		.amdhsa_float_denorm_mode_32 3
		.amdhsa_float_denorm_mode_16_64 3
		.amdhsa_dx10_clamp 1
		.amdhsa_ieee_mode 1
		.amdhsa_fp16_overflow 0
		.amdhsa_exception_fp_ieee_invalid_op 0
		.amdhsa_exception_fp_denorm_src 0
		.amdhsa_exception_fp_ieee_div_zero 0
		.amdhsa_exception_fp_ieee_overflow 0
		.amdhsa_exception_fp_ieee_underflow 0
		.amdhsa_exception_fp_ieee_inexact 0
		.amdhsa_exception_int_div_zero 0
	.end_amdhsa_kernel
	.text
.Lfunc_end0:
	.size	_Z4initv, .Lfunc_end0-_Z4initv
                                        ; -- End function
	.set _Z4initv.num_vgpr, 9
	.set _Z4initv.num_agpr, 0
	.set _Z4initv.numbered_sgpr, 7
	.set _Z4initv.num_named_barrier, 0
	.set _Z4initv.private_seg_size, 0
	.set _Z4initv.uses_vcc, 1
	.set _Z4initv.uses_flat_scratch, 0
	.set _Z4initv.has_dyn_sized_stack, 0
	.set _Z4initv.has_recursion, 0
	.set _Z4initv.has_indirect_call, 0
	.section	.AMDGPU.csdata,"",@progbits
; Kernel info:
; codeLenInByte = 228
; TotalNumSgprs: 11
; NumVgprs: 9
; ScratchSize: 0
; MemoryBound: 0
; FloatMode: 240
; IeeeMode: 1
; LDSByteSize: 0 bytes/workgroup (compile time only)
; SGPRBlocks: 1
; VGPRBlocks: 2
; NumSGPRsForWavesPerEU: 11
; NumVGPRsForWavesPerEU: 9
; Occupancy: 10
; WaveLimiterHint : 0
; COMPUTE_PGM_RSRC2:SCRATCH_EN: 0
; COMPUTE_PGM_RSRC2:USER_SGPR: 6
; COMPUTE_PGM_RSRC2:TRAP_HANDLER: 0
; COMPUTE_PGM_RSRC2:TGID_X_EN: 1
; COMPUTE_PGM_RSRC2:TGID_Y_EN: 0
; COMPUTE_PGM_RSRC2:TGID_Z_EN: 0
; COMPUTE_PGM_RSRC2:TIDIG_COMP_CNT: 0
	.text
	.protected	_Z16calc_min_in_rowsv   ; -- Begin function _Z16calc_min_in_rowsv
	.globl	_Z16calc_min_in_rowsv
	.p2align	8
	.type	_Z16calc_min_in_rowsv,@function
_Z16calc_min_in_rowsv:                  ; @_Z16calc_min_in_rowsv
; %bb.0:
	s_lshl_b32 s4, s4, 2
	v_and_b32_e32 v2, 3, v0
	v_lshlrev_b32_e32 v3, 8, v0
	v_or_b32_e32 v1, s4, v2
	v_and_b32_e32 v4, 0x3fc00, v3
	v_add_u32_e32 v1, v1, v4
	s_mov_b32 s0, 0x100000
	v_cmp_gt_u32_e32 vcc, s0, v1
	v_bfrev_b32_e32 v3, -2
	s_and_saveexec_b64 s[0:1], vcc
	s_cbranch_execz .LBB1_4
; %bb.1:
	v_add_u32_e32 v3, s4, v4
	s_mov_b32 s2, 0xffff0000
	v_add3_u32 v4, v3, v2, s2
	v_mov_b32_e32 v2, 0
	v_lshlrev_b64 v[1:2], 2, v[1:2]
	s_getpc_b64 s[2:3]
	s_add_u32 s2, s2, slack@rel32@lo+4
	s_addc_u32 s3, s3, slack@rel32@hi+12
	v_mov_b32_e32 v3, s3
	v_add_co_u32_e32 v1, vcc, s2, v1
	v_addc_co_u32_e32 v2, vcc, v3, v2, vcc
	v_bfrev_b32_e32 v3, -2
	s_mov_b64 s[2:3], 0
	s_mov_b32 s5, 0xeffff
.LBB1_2:                                ; =>This Inner Loop Header: Depth=1
	global_load_dword v5, v[1:2], off
	v_add_co_u32_e32 v1, vcc, 0x40000, v1
	v_add_u32_e32 v4, 0x10000, v4
	v_addc_co_u32_e32 v2, vcc, 0, v2, vcc
	v_cmp_lt_u32_e32 vcc, s5, v4
	s_or_b64 s[2:3], vcc, s[2:3]
	s_waitcnt vmcnt(0)
	v_min_i32_e32 v3, v3, v5
	s_andn2_b64 exec, exec, s[2:3]
	s_cbranch_execnz .LBB1_2
; %bb.3:
	s_or_b64 exec, exec, s[2:3]
.LBB1_4:
	s_or_b64 exec, exec, s[0:1]
	s_movk_i32 s0, 0x80
	v_lshlrev_b32_e32 v1, 2, v0
	v_cmp_gt_u32_e32 vcc, s0, v0
	ds_write_b32 v1, v3
	s_waitcnt lgkmcnt(0)
	s_barrier
	s_and_saveexec_b64 s[0:1], vcc
	s_cbranch_execz .LBB1_6
; %bb.5:
	ds_read2st64_b32 v[2:3], v1 offset1:2
	s_waitcnt lgkmcnt(0)
	v_min_i32_e32 v2, v2, v3
	ds_write_b32 v1, v2
.LBB1_6:
	s_or_b64 exec, exec, s[0:1]
	v_cmp_gt_u32_e32 vcc, 64, v0
	s_waitcnt lgkmcnt(0)
	s_barrier
	s_and_saveexec_b64 s[0:1], vcc
	s_cbranch_execz .LBB1_8
; %bb.7:
	ds_read2st64_b32 v[2:3], v1 offset1:1
	s_waitcnt lgkmcnt(0)
	v_min_i32_e32 v2, v2, v3
	ds_write_b32 v1, v2
.LBB1_8:
	s_or_b64 exec, exec, s[0:1]
	v_cmp_gt_u32_e32 vcc, 32, v0
	s_waitcnt lgkmcnt(0)
	s_barrier
	s_and_saveexec_b64 s[0:1], vcc
	s_cbranch_execnz .LBB1_11
; %bb.9:
	s_or_b64 exec, exec, s[0:1]
	v_cmp_gt_u32_e32 vcc, 4, v0
	s_and_saveexec_b64 s[0:1], vcc
	s_cbranch_execnz .LBB1_12
.LBB1_10:
	s_endpgm
.LBB1_11:
	s_mov_b64 s[2:3], src_shared_base
	v_mov_b32_e32 v2, s3
	v_add_u32_e32 v3, 0x80, v1
	v_mov_b32_e32 v4, s3
	flat_load_dword v5, v[1:2] glc
	s_waitcnt vmcnt(0)
	flat_load_dword v6, v[3:4] glc
	s_waitcnt vmcnt(0)
	v_add_u32_e32 v3, 64, v1
	s_waitcnt lgkmcnt(0)
	v_min_i32_e32 v5, v5, v6
	flat_store_dword v[1:2], v5
	s_waitcnt vmcnt(0)
	flat_load_dword v5, v[1:2] glc
	s_waitcnt vmcnt(0)
	flat_load_dword v6, v[3:4] glc
	s_waitcnt vmcnt(0)
	v_add_u32_e32 v3, 32, v1
	s_waitcnt lgkmcnt(0)
	v_min_i32_e32 v5, v5, v6
	flat_store_dword v[1:2], v5
	s_waitcnt vmcnt(0)
	;; [unrolled: 9-line block ×3, first 2 shown]
	flat_load_dword v5, v[1:2] glc
	s_waitcnt vmcnt(0)
	flat_load_dword v6, v[3:4] glc
	s_waitcnt vmcnt(0) lgkmcnt(0)
	v_min_i32_e32 v3, v5, v6
	flat_store_dword v[1:2], v3
	s_waitcnt vmcnt(0)
	s_or_b64 exec, exec, s[0:1]
	v_cmp_gt_u32_e32 vcc, 4, v0
	s_and_saveexec_b64 s[0:1], vcc
	s_cbranch_execz .LBB1_10
.LBB1_12:
	v_or_b32_e32 v2, s4, v0
	v_mov_b32_e32 v3, 0
	ds_read_b32 v5, v1
	v_lshlrev_b64 v[2:3], 2, v[2:3]
	s_getpc_b64 s[0:1]
	s_add_u32 s0, s0, min_in_rows@rel32@lo+4
	s_addc_u32 s1, s1, min_in_rows@rel32@hi+12
	v_mov_b32_e32 v4, s1
	v_add_co_u32_e32 v0, vcc, s0, v2
	v_addc_co_u32_e32 v1, vcc, v4, v3, vcc
	s_waitcnt lgkmcnt(0)
	global_store_dword v[0:1], v5, off
	s_endpgm
	.section	.rodata,"a",@progbits
	.p2align	6, 0x0
	.amdhsa_kernel _Z16calc_min_in_rowsv
		.amdhsa_group_segment_fixed_size 1024
		.amdhsa_private_segment_fixed_size 0
		.amdhsa_kernarg_size 0
		.amdhsa_user_sgpr_count 4
		.amdhsa_user_sgpr_private_segment_buffer 1
		.amdhsa_user_sgpr_dispatch_ptr 0
		.amdhsa_user_sgpr_queue_ptr 0
		.amdhsa_user_sgpr_kernarg_segment_ptr 0
		.amdhsa_user_sgpr_dispatch_id 0
		.amdhsa_user_sgpr_flat_scratch_init 0
		.amdhsa_user_sgpr_private_segment_size 0
		.amdhsa_uses_dynamic_stack 0
		.amdhsa_system_sgpr_private_segment_wavefront_offset 0
		.amdhsa_system_sgpr_workgroup_id_x 1
		.amdhsa_system_sgpr_workgroup_id_y 0
		.amdhsa_system_sgpr_workgroup_id_z 0
		.amdhsa_system_sgpr_workgroup_info 0
		.amdhsa_system_vgpr_workitem_id 0
		.amdhsa_next_free_vgpr 7
		.amdhsa_next_free_sgpr 6
		.amdhsa_reserve_vcc 1
		.amdhsa_reserve_flat_scratch 0
		.amdhsa_float_round_mode_32 0
		.amdhsa_float_round_mode_16_64 0
		.amdhsa_float_denorm_mode_32 3
		.amdhsa_float_denorm_mode_16_64 3
		.amdhsa_dx10_clamp 1
		.amdhsa_ieee_mode 1
		.amdhsa_fp16_overflow 0
		.amdhsa_exception_fp_ieee_invalid_op 0
		.amdhsa_exception_fp_denorm_src 0
		.amdhsa_exception_fp_ieee_div_zero 0
		.amdhsa_exception_fp_ieee_overflow 0
		.amdhsa_exception_fp_ieee_underflow 0
		.amdhsa_exception_fp_ieee_inexact 0
		.amdhsa_exception_int_div_zero 0
	.end_amdhsa_kernel
	.text
.Lfunc_end1:
	.size	_Z16calc_min_in_rowsv, .Lfunc_end1-_Z16calc_min_in_rowsv
                                        ; -- End function
	.set _Z16calc_min_in_rowsv.num_vgpr, 7
	.set _Z16calc_min_in_rowsv.num_agpr, 0
	.set _Z16calc_min_in_rowsv.numbered_sgpr, 6
	.set _Z16calc_min_in_rowsv.num_named_barrier, 0
	.set _Z16calc_min_in_rowsv.private_seg_size, 0
	.set _Z16calc_min_in_rowsv.uses_vcc, 1
	.set _Z16calc_min_in_rowsv.uses_flat_scratch, 0
	.set _Z16calc_min_in_rowsv.has_dyn_sized_stack, 0
	.set _Z16calc_min_in_rowsv.has_recursion, 0
	.set _Z16calc_min_in_rowsv.has_indirect_call, 0
	.section	.AMDGPU.csdata,"",@progbits
; Kernel info:
; codeLenInByte = 636
; TotalNumSgprs: 10
; NumVgprs: 7
; ScratchSize: 0
; MemoryBound: 0
; FloatMode: 240
; IeeeMode: 1
; LDSByteSize: 1024 bytes/workgroup (compile time only)
; SGPRBlocks: 1
; VGPRBlocks: 1
; NumSGPRsForWavesPerEU: 10
; NumVGPRsForWavesPerEU: 7
; Occupancy: 10
; WaveLimiterHint : 0
; COMPUTE_PGM_RSRC2:SCRATCH_EN: 0
; COMPUTE_PGM_RSRC2:USER_SGPR: 4
; COMPUTE_PGM_RSRC2:TRAP_HANDLER: 0
; COMPUTE_PGM_RSRC2:TGID_X_EN: 1
; COMPUTE_PGM_RSRC2:TGID_Y_EN: 0
; COMPUTE_PGM_RSRC2:TGID_Z_EN: 0
; COMPUTE_PGM_RSRC2:TIDIG_COMP_CNT: 0
	.text
	.protected	_Z16calc_min_in_colsv   ; -- Begin function _Z16calc_min_in_colsv
	.globl	_Z16calc_min_in_colsv
	.p2align	8
	.type	_Z16calc_min_in_colsv,@function
_Z16calc_min_in_colsv:                  ; @_Z16calc_min_in_colsv
; %bb.0:
	s_lshl_b32 s2, s4, 2
	v_and_or_b32 v1, v0, 3, s2
	v_lshrrev_b32_e32 v5, 2, v0
	v_lshlrev_b32_e32 v4, 10, v1
	v_bfrev_b32_e32 v3, -2
	s_mov_b64 s[0:1], 0
	v_mov_b32_e32 v2, 0
	s_movk_i32 s3, 0x3bf
	s_getpc_b64 s[4:5]
	s_add_u32 s4, s4, slack@rel32@lo+4
	s_addc_u32 s5, s5, slack@rel32@hi+12
.LBB2_1:                                ; =>This Inner Loop Header: Depth=1
	v_add_u32_e32 v1, v4, v5
	v_lshlrev_b64 v[6:7], 2, v[1:2]
	v_mov_b32_e32 v1, s5
	v_add_co_u32_e32 v6, vcc, s4, v6
	v_addc_co_u32_e32 v7, vcc, v1, v7, vcc
	global_load_dword v1, v[6:7], off
	v_add_u32_e32 v6, 64, v5
	v_cmp_lt_u32_e32 vcc, s3, v5
	s_or_b64 s[0:1], vcc, s[0:1]
	v_mov_b32_e32 v5, v6
	s_waitcnt vmcnt(0)
	v_min_i32_e32 v3, v3, v1
	s_andn2_b64 exec, exec, s[0:1]
	s_cbranch_execnz .LBB2_1
; %bb.2:
	s_or_b64 exec, exec, s[0:1]
	s_movk_i32 s0, 0x80
	v_lshlrev_b32_e32 v1, 2, v0
	v_cmp_gt_u32_e32 vcc, s0, v0
	ds_write_b32 v1, v3
	s_waitcnt lgkmcnt(0)
	s_barrier
	s_and_saveexec_b64 s[0:1], vcc
	s_cbranch_execz .LBB2_4
; %bb.3:
	ds_read2st64_b32 v[2:3], v1 offset1:2
	s_waitcnt lgkmcnt(0)
	v_min_i32_e32 v2, v2, v3
	ds_write_b32 v1, v2
.LBB2_4:
	s_or_b64 exec, exec, s[0:1]
	v_cmp_gt_u32_e32 vcc, 64, v0
	s_waitcnt lgkmcnt(0)
	s_barrier
	s_and_saveexec_b64 s[0:1], vcc
	s_cbranch_execz .LBB2_6
; %bb.5:
	ds_read2st64_b32 v[2:3], v1 offset1:1
	s_waitcnt lgkmcnt(0)
	v_min_i32_e32 v2, v2, v3
	ds_write_b32 v1, v2
.LBB2_6:
	s_or_b64 exec, exec, s[0:1]
	v_cmp_gt_u32_e32 vcc, 32, v0
	s_waitcnt lgkmcnt(0)
	s_barrier
	s_and_saveexec_b64 s[0:1], vcc
	s_cbranch_execnz .LBB2_9
; %bb.7:
	s_or_b64 exec, exec, s[0:1]
	v_cmp_gt_u32_e32 vcc, 4, v0
	s_and_saveexec_b64 s[0:1], vcc
	s_cbranch_execnz .LBB2_10
.LBB2_8:
	s_endpgm
.LBB2_9:
	s_mov_b64 s[4:5], src_shared_base
	v_mov_b32_e32 v2, s5
	v_add_u32_e32 v3, 0x80, v1
	v_mov_b32_e32 v4, s5
	flat_load_dword v5, v[1:2] glc
	s_waitcnt vmcnt(0)
	flat_load_dword v6, v[3:4] glc
	s_waitcnt vmcnt(0)
	v_add_u32_e32 v3, 64, v1
	s_waitcnt lgkmcnt(0)
	v_min_i32_e32 v5, v5, v6
	flat_store_dword v[1:2], v5
	s_waitcnt vmcnt(0)
	flat_load_dword v5, v[1:2] glc
	s_waitcnt vmcnt(0)
	flat_load_dword v6, v[3:4] glc
	s_waitcnt vmcnt(0)
	v_add_u32_e32 v3, 32, v1
	s_waitcnt lgkmcnt(0)
	v_min_i32_e32 v5, v5, v6
	flat_store_dword v[1:2], v5
	s_waitcnt vmcnt(0)
	;; [unrolled: 9-line block ×3, first 2 shown]
	flat_load_dword v5, v[1:2] glc
	s_waitcnt vmcnt(0)
	flat_load_dword v6, v[3:4] glc
	s_waitcnt vmcnt(0) lgkmcnt(0)
	v_min_i32_e32 v3, v5, v6
	flat_store_dword v[1:2], v3
	s_waitcnt vmcnt(0)
	s_or_b64 exec, exec, s[0:1]
	v_cmp_gt_u32_e32 vcc, 4, v0
	s_and_saveexec_b64 s[0:1], vcc
	s_cbranch_execz .LBB2_8
.LBB2_10:
	v_or_b32_e32 v2, s2, v0
	v_mov_b32_e32 v3, 0
	ds_read_b32 v5, v1
	v_lshlrev_b64 v[2:3], 2, v[2:3]
	s_getpc_b64 s[0:1]
	s_add_u32 s0, s0, min_in_cols@rel32@lo+4
	s_addc_u32 s1, s1, min_in_cols@rel32@hi+12
	v_mov_b32_e32 v4, s1
	v_add_co_u32_e32 v0, vcc, s0, v2
	v_addc_co_u32_e32 v1, vcc, v4, v3, vcc
	s_waitcnt lgkmcnt(0)
	global_store_dword v[0:1], v5, off
	s_endpgm
	.section	.rodata,"a",@progbits
	.p2align	6, 0x0
	.amdhsa_kernel _Z16calc_min_in_colsv
		.amdhsa_group_segment_fixed_size 1024
		.amdhsa_private_segment_fixed_size 0
		.amdhsa_kernarg_size 0
		.amdhsa_user_sgpr_count 4
		.amdhsa_user_sgpr_private_segment_buffer 1
		.amdhsa_user_sgpr_dispatch_ptr 0
		.amdhsa_user_sgpr_queue_ptr 0
		.amdhsa_user_sgpr_kernarg_segment_ptr 0
		.amdhsa_user_sgpr_dispatch_id 0
		.amdhsa_user_sgpr_flat_scratch_init 0
		.amdhsa_user_sgpr_private_segment_size 0
		.amdhsa_uses_dynamic_stack 0
		.amdhsa_system_sgpr_private_segment_wavefront_offset 0
		.amdhsa_system_sgpr_workgroup_id_x 1
		.amdhsa_system_sgpr_workgroup_id_y 0
		.amdhsa_system_sgpr_workgroup_id_z 0
		.amdhsa_system_sgpr_workgroup_info 0
		.amdhsa_system_vgpr_workitem_id 0
		.amdhsa_next_free_vgpr 8
		.amdhsa_next_free_sgpr 6
		.amdhsa_reserve_vcc 1
		.amdhsa_reserve_flat_scratch 0
		.amdhsa_float_round_mode_32 0
		.amdhsa_float_round_mode_16_64 0
		.amdhsa_float_denorm_mode_32 3
		.amdhsa_float_denorm_mode_16_64 3
		.amdhsa_dx10_clamp 1
		.amdhsa_ieee_mode 1
		.amdhsa_fp16_overflow 0
		.amdhsa_exception_fp_ieee_invalid_op 0
		.amdhsa_exception_fp_denorm_src 0
		.amdhsa_exception_fp_ieee_div_zero 0
		.amdhsa_exception_fp_ieee_overflow 0
		.amdhsa_exception_fp_ieee_underflow 0
		.amdhsa_exception_fp_ieee_inexact 0
		.amdhsa_exception_int_div_zero 0
	.end_amdhsa_kernel
	.text
.Lfunc_end2:
	.size	_Z16calc_min_in_colsv, .Lfunc_end2-_Z16calc_min_in_colsv
                                        ; -- End function
	.set _Z16calc_min_in_colsv.num_vgpr, 8
	.set _Z16calc_min_in_colsv.num_agpr, 0
	.set _Z16calc_min_in_colsv.numbered_sgpr, 6
	.set _Z16calc_min_in_colsv.num_named_barrier, 0
	.set _Z16calc_min_in_colsv.private_seg_size, 0
	.set _Z16calc_min_in_colsv.uses_vcc, 1
	.set _Z16calc_min_in_colsv.uses_flat_scratch, 0
	.set _Z16calc_min_in_colsv.has_dyn_sized_stack, 0
	.set _Z16calc_min_in_colsv.has_recursion, 0
	.set _Z16calc_min_in_colsv.has_indirect_call, 0
	.section	.AMDGPU.csdata,"",@progbits
; Kernel info:
; codeLenInByte = 568
; TotalNumSgprs: 10
; NumVgprs: 8
; ScratchSize: 0
; MemoryBound: 0
; FloatMode: 240
; IeeeMode: 1
; LDSByteSize: 1024 bytes/workgroup (compile time only)
; SGPRBlocks: 1
; VGPRBlocks: 1
; NumSGPRsForWavesPerEU: 10
; NumVGPRsForWavesPerEU: 8
; Occupancy: 10
; WaveLimiterHint : 0
; COMPUTE_PGM_RSRC2:SCRATCH_EN: 0
; COMPUTE_PGM_RSRC2:USER_SGPR: 4
; COMPUTE_PGM_RSRC2:TRAP_HANDLER: 0
; COMPUTE_PGM_RSRC2:TGID_X_EN: 1
; COMPUTE_PGM_RSRC2:TGID_Y_EN: 0
; COMPUTE_PGM_RSRC2:TGID_Z_EN: 0
; COMPUTE_PGM_RSRC2:TIDIG_COMP_CNT: 0
	.text
	.protected	_Z14step_1_row_subv     ; -- Begin function _Z14step_1_row_subv
	.globl	_Z14step_1_row_subv
	.p2align	8
	.type	_Z14step_1_row_subv,@function
_Z14step_1_row_subv:                    ; @_Z14step_1_row_subv
; %bb.0:
	s_load_dword s2, s[4:5], 0xc
	s_getpc_b64 s[0:1]
	s_add_u32 s0, s0, slack@rel32@lo+4
	s_addc_u32 s1, s1, slack@rel32@hi+12
	v_mov_b32_e32 v3, s1
	s_waitcnt lgkmcnt(0)
	s_and_b32 s2, s2, 0xffff
	s_mul_i32 s6, s6, s2
	v_add_u32_e32 v0, s6, v0
	v_ashrrev_i32_e32 v1, 31, v0
	v_and_b32_e32 v2, 0x3ff, v0
	v_lshlrev_b64 v[0:1], 2, v[0:1]
	v_lshlrev_b32_e32 v2, 2, v2
	v_add_co_u32_e32 v0, vcc, s0, v0
	v_addc_co_u32_e32 v1, vcc, v3, v1, vcc
	s_getpc_b64 s[0:1]
	s_add_u32 s0, s0, min_in_rows@rel32@lo+4
	s_addc_u32 s1, s1, min_in_rows@rel32@hi+12
	global_load_dword v3, v[0:1], off
	s_nop 0
	global_load_dword v2, v2, s[0:1]
	s_waitcnt vmcnt(0)
	v_sub_u32_e32 v2, v3, v2
	global_store_dword v[0:1], v2, off
	s_endpgm
	.section	.rodata,"a",@progbits
	.p2align	6, 0x0
	.amdhsa_kernel _Z14step_1_row_subv
		.amdhsa_group_segment_fixed_size 0
		.amdhsa_private_segment_fixed_size 0
		.amdhsa_kernarg_size 256
		.amdhsa_user_sgpr_count 6
		.amdhsa_user_sgpr_private_segment_buffer 1
		.amdhsa_user_sgpr_dispatch_ptr 0
		.amdhsa_user_sgpr_queue_ptr 0
		.amdhsa_user_sgpr_kernarg_segment_ptr 1
		.amdhsa_user_sgpr_dispatch_id 0
		.amdhsa_user_sgpr_flat_scratch_init 0
		.amdhsa_user_sgpr_private_segment_size 0
		.amdhsa_uses_dynamic_stack 0
		.amdhsa_system_sgpr_private_segment_wavefront_offset 0
		.amdhsa_system_sgpr_workgroup_id_x 1
		.amdhsa_system_sgpr_workgroup_id_y 0
		.amdhsa_system_sgpr_workgroup_id_z 0
		.amdhsa_system_sgpr_workgroup_info 0
		.amdhsa_system_vgpr_workitem_id 0
		.amdhsa_next_free_vgpr 4
		.amdhsa_next_free_sgpr 7
		.amdhsa_reserve_vcc 1
		.amdhsa_reserve_flat_scratch 0
		.amdhsa_float_round_mode_32 0
		.amdhsa_float_round_mode_16_64 0
		.amdhsa_float_denorm_mode_32 3
		.amdhsa_float_denorm_mode_16_64 3
		.amdhsa_dx10_clamp 1
		.amdhsa_ieee_mode 1
		.amdhsa_fp16_overflow 0
		.amdhsa_exception_fp_ieee_invalid_op 0
		.amdhsa_exception_fp_denorm_src 0
		.amdhsa_exception_fp_ieee_div_zero 0
		.amdhsa_exception_fp_ieee_overflow 0
		.amdhsa_exception_fp_ieee_underflow 0
		.amdhsa_exception_fp_ieee_inexact 0
		.amdhsa_exception_int_div_zero 0
	.end_amdhsa_kernel
	.text
.Lfunc_end3:
	.size	_Z14step_1_row_subv, .Lfunc_end3-_Z14step_1_row_subv
                                        ; -- End function
	.set _Z14step_1_row_subv.num_vgpr, 4
	.set _Z14step_1_row_subv.num_agpr, 0
	.set _Z14step_1_row_subv.numbered_sgpr, 7
	.set _Z14step_1_row_subv.num_named_barrier, 0
	.set _Z14step_1_row_subv.private_seg_size, 0
	.set _Z14step_1_row_subv.uses_vcc, 1
	.set _Z14step_1_row_subv.uses_flat_scratch, 0
	.set _Z14step_1_row_subv.has_dyn_sized_stack, 0
	.set _Z14step_1_row_subv.has_recursion, 0
	.set _Z14step_1_row_subv.has_indirect_call, 0
	.section	.AMDGPU.csdata,"",@progbits
; Kernel info:
; codeLenInByte = 144
; TotalNumSgprs: 11
; NumVgprs: 4
; ScratchSize: 0
; MemoryBound: 0
; FloatMode: 240
; IeeeMode: 1
; LDSByteSize: 0 bytes/workgroup (compile time only)
; SGPRBlocks: 1
; VGPRBlocks: 0
; NumSGPRsForWavesPerEU: 11
; NumVGPRsForWavesPerEU: 4
; Occupancy: 10
; WaveLimiterHint : 0
; COMPUTE_PGM_RSRC2:SCRATCH_EN: 0
; COMPUTE_PGM_RSRC2:USER_SGPR: 6
; COMPUTE_PGM_RSRC2:TRAP_HANDLER: 0
; COMPUTE_PGM_RSRC2:TGID_X_EN: 1
; COMPUTE_PGM_RSRC2:TGID_Y_EN: 0
; COMPUTE_PGM_RSRC2:TGID_Z_EN: 0
; COMPUTE_PGM_RSRC2:TIDIG_COMP_CNT: 0
	.text
	.protected	_Z14step_1_col_subv     ; -- Begin function _Z14step_1_col_subv
	.globl	_Z14step_1_col_subv
	.p2align	8
	.type	_Z14step_1_col_subv,@function
_Z14step_1_col_subv:                    ; @_Z14step_1_col_subv
; %bb.0:
	s_load_dword s2, s[4:5], 0xc
	s_getpc_b64 s[0:1]
	s_add_u32 s0, s0, slack@rel32@lo+4
	s_addc_u32 s1, s1, slack@rel32@hi+12
	s_waitcnt lgkmcnt(0)
	s_and_b32 s2, s2, 0xffff
	s_mul_i32 s6, s6, s2
	v_add_u32_e32 v2, s6, v0
	v_ashrrev_i32_e32 v3, 31, v2
	v_lshlrev_b64 v[0:1], 2, v[2:3]
	v_ashrrev_i32_e32 v4, 10, v2
	v_mov_b32_e32 v3, s1
	v_add_co_u32_e32 v6, vcc, s0, v0
	v_ashrrev_i32_e32 v5, 31, v4
	v_addc_co_u32_e32 v7, vcc, v3, v1, vcc
	v_lshlrev_b64 v[3:4], 2, v[4:5]
	s_getpc_b64 s[0:1]
	s_add_u32 s0, s0, min_in_cols@rel32@lo+4
	s_addc_u32 s1, s1, min_in_cols@rel32@hi+12
	v_mov_b32_e32 v5, s1
	v_add_co_u32_e32 v3, vcc, s0, v3
	v_addc_co_u32_e32 v4, vcc, v5, v4, vcc
	global_load_dword v8, v[6:7], off
	v_cmp_eq_u32_e32 vcc, 0, v2
	global_load_dword v3, v[3:4], off
	s_waitcnt vmcnt(0)
	v_sub_u32_e32 v3, v8, v3
	global_store_dword v[6:7], v3, off
	s_and_saveexec_b64 s[0:1], vcc
	s_cbranch_execnz .LBB4_3
; %bb.1:
	s_or_b64 exec, exec, s[0:1]
	v_cmp_gt_i32_e32 vcc, 2, v2
	s_and_saveexec_b64 s[0:1], vcc
	s_cbranch_execnz .LBB4_4
.LBB4_2:
	s_endpgm
.LBB4_3:
	s_getpc_b64 s[2:3]
	s_add_u32 s2, s2, zeros_size@rel32@lo+4
	s_addc_u32 s3, s3, zeros_size@rel32@hi+12
	s_load_dwordx2 s[2:3], s[2:3], 0x0
	v_mov_b32_e32 v3, 0
	s_waitcnt lgkmcnt(0)
	global_store_dword v3, v3, s[2:3]
	s_or_b64 exec, exec, s[0:1]
	v_cmp_gt_i32_e32 vcc, 2, v2
	s_and_saveexec_b64 s[0:1], vcc
	s_cbranch_execz .LBB4_2
.LBB4_4:
	s_getpc_b64 s[0:1]
	s_add_u32 s0, s0, zeros_size_b@rel32@lo+4
	s_addc_u32 s1, s1, zeros_size_b@rel32@hi+12
	v_mov_b32_e32 v2, s1
	v_add_co_u32_e32 v0, vcc, s0, v0
	v_addc_co_u32_e32 v1, vcc, v2, v1, vcc
	v_mov_b32_e32 v2, 0
	global_store_dword v[0:1], v2, off
	s_endpgm
	.section	.rodata,"a",@progbits
	.p2align	6, 0x0
	.amdhsa_kernel _Z14step_1_col_subv
		.amdhsa_group_segment_fixed_size 0
		.amdhsa_private_segment_fixed_size 0
		.amdhsa_kernarg_size 256
		.amdhsa_user_sgpr_count 6
		.amdhsa_user_sgpr_private_segment_buffer 1
		.amdhsa_user_sgpr_dispatch_ptr 0
		.amdhsa_user_sgpr_queue_ptr 0
		.amdhsa_user_sgpr_kernarg_segment_ptr 1
		.amdhsa_user_sgpr_dispatch_id 0
		.amdhsa_user_sgpr_flat_scratch_init 0
		.amdhsa_user_sgpr_private_segment_size 0
		.amdhsa_uses_dynamic_stack 0
		.amdhsa_system_sgpr_private_segment_wavefront_offset 0
		.amdhsa_system_sgpr_workgroup_id_x 1
		.amdhsa_system_sgpr_workgroup_id_y 0
		.amdhsa_system_sgpr_workgroup_id_z 0
		.amdhsa_system_sgpr_workgroup_info 0
		.amdhsa_system_vgpr_workitem_id 0
		.amdhsa_next_free_vgpr 9
		.amdhsa_next_free_sgpr 7
		.amdhsa_reserve_vcc 1
		.amdhsa_reserve_flat_scratch 0
		.amdhsa_float_round_mode_32 0
		.amdhsa_float_round_mode_16_64 0
		.amdhsa_float_denorm_mode_32 3
		.amdhsa_float_denorm_mode_16_64 3
		.amdhsa_dx10_clamp 1
		.amdhsa_ieee_mode 1
		.amdhsa_fp16_overflow 0
		.amdhsa_exception_fp_ieee_invalid_op 0
		.amdhsa_exception_fp_denorm_src 0
		.amdhsa_exception_fp_ieee_div_zero 0
		.amdhsa_exception_fp_ieee_overflow 0
		.amdhsa_exception_fp_ieee_underflow 0
		.amdhsa_exception_fp_ieee_inexact 0
		.amdhsa_exception_int_div_zero 0
	.end_amdhsa_kernel
	.text
.Lfunc_end4:
	.size	_Z14step_1_col_subv, .Lfunc_end4-_Z14step_1_col_subv
                                        ; -- End function
	.set _Z14step_1_col_subv.num_vgpr, 9
	.set _Z14step_1_col_subv.num_agpr, 0
	.set _Z14step_1_col_subv.numbered_sgpr, 7
	.set _Z14step_1_col_subv.num_named_barrier, 0
	.set _Z14step_1_col_subv.private_seg_size, 0
	.set _Z14step_1_col_subv.uses_vcc, 1
	.set _Z14step_1_col_subv.uses_flat_scratch, 0
	.set _Z14step_1_col_subv.has_dyn_sized_stack, 0
	.set _Z14step_1_col_subv.has_recursion, 0
	.set _Z14step_1_col_subv.has_indirect_call, 0
	.section	.AMDGPU.csdata,"",@progbits
; Kernel info:
; codeLenInByte = 292
; TotalNumSgprs: 11
; NumVgprs: 9
; ScratchSize: 0
; MemoryBound: 0
; FloatMode: 240
; IeeeMode: 1
; LDSByteSize: 0 bytes/workgroup (compile time only)
; SGPRBlocks: 1
; VGPRBlocks: 2
; NumSGPRsForWavesPerEU: 11
; NumVGPRsForWavesPerEU: 9
; Occupancy: 10
; WaveLimiterHint : 1
; COMPUTE_PGM_RSRC2:SCRATCH_EN: 0
; COMPUTE_PGM_RSRC2:USER_SGPR: 6
; COMPUTE_PGM_RSRC2:TRAP_HANDLER: 0
; COMPUTE_PGM_RSRC2:TGID_X_EN: 1
; COMPUTE_PGM_RSRC2:TGID_Y_EN: 0
; COMPUTE_PGM_RSRC2:TGID_Z_EN: 0
; COMPUTE_PGM_RSRC2:TIDIG_COMP_CNT: 0
	.text
	.protected	_Z15compress_matrixv    ; -- Begin function _Z15compress_matrixv
	.globl	_Z15compress_matrixv
	.p2align	8
	.type	_Z15compress_matrixv,@function
_Z15compress_matrixv:                   ; @_Z15compress_matrixv
; %bb.0:
	s_load_dword s2, s[4:5], 0xc
	s_getpc_b64 s[0:1]
	s_add_u32 s0, s0, slack@rel32@lo+4
	s_addc_u32 s1, s1, slack@rel32@hi+12
	v_mov_b32_e32 v3, s1
	s_waitcnt lgkmcnt(0)
	s_and_b32 s1, s2, 0xffff
	s_mul_i32 s6, s6, s1
	v_add_u32_e32 v0, s6, v0
	v_ashrrev_i32_e32 v1, 31, v0
	v_lshlrev_b64 v[1:2], 2, v[0:1]
	v_add_co_u32_e32 v1, vcc, s0, v1
	v_addc_co_u32_e32 v2, vcc, v3, v2, vcc
	global_load_dword v1, v[1:2], off
	s_waitcnt vmcnt(0)
	v_cmp_eq_u32_e32 vcc, 0, v1
	s_and_saveexec_b64 s[0:1], vcc
	s_cbranch_execz .LBB5_4
; %bb.1:
	s_mov_b64 s[2:3], exec
	v_mbcnt_lo_u32_b32 v1, s2, 0
	v_mbcnt_hi_u32_b32 v1, s3, v1
	v_cmp_eq_u32_e32 vcc, 0, v1
	s_and_saveexec_b64 s[0:1], vcc
	s_cbranch_execz .LBB5_3
; %bb.2:
	s_getpc_b64 s[4:5]
	s_add_u32 s4, s4, zeros_size@rel32@lo+4
	s_addc_u32 s5, s5, zeros_size@rel32@hi+12
	s_load_dwordx2 s[4:5], s[4:5], 0x0
	s_bcnt1_i32_b64 s2, s[2:3]
	v_mov_b32_e32 v1, 0
	v_mov_b32_e32 v2, s2
	s_waitcnt lgkmcnt(0)
	global_atomic_add v1, v2, s[4:5]
.LBB5_3:
	s_or_b64 exec, exec, s[0:1]
	v_ashrrev_i32_e32 v1, 19, v0
	v_ashrrev_i32_e32 v2, 31, v1
	v_lshlrev_b64 v[1:2], 2, v[1:2]
	s_getpc_b64 s[0:1]
	s_add_u32 s0, s0, zeros_size_b@rel32@lo+4
	s_addc_u32 s1, s1, zeros_size_b@rel32@hi+12
	v_mov_b32_e32 v3, s1
	v_add_co_u32_e32 v1, vcc, s0, v1
	v_addc_co_u32_e32 v2, vcc, v3, v2, vcc
	v_mov_b32_e32 v3, 1
	global_atomic_add v1, v[1:2], v3, off glc
	v_and_b32_e32 v2, 0xfff80000, v0
	s_getpc_b64 s[0:1]
	s_add_u32 s0, s0, zeros@rel32@lo+4
	s_addc_u32 s1, s1, zeros@rel32@hi+12
	v_mov_b32_e32 v3, s1
	s_waitcnt vmcnt(0)
	v_add_u32_e32 v1, v1, v2
	v_ashrrev_i32_e32 v2, 31, v1
	v_lshlrev_b64 v[1:2], 2, v[1:2]
	v_add_co_u32_e32 v1, vcc, s0, v1
	v_addc_co_u32_e32 v2, vcc, v3, v2, vcc
	global_store_dword v[1:2], v0, off
.LBB5_4:
	s_endpgm
	.section	.rodata,"a",@progbits
	.p2align	6, 0x0
	.amdhsa_kernel _Z15compress_matrixv
		.amdhsa_group_segment_fixed_size 0
		.amdhsa_private_segment_fixed_size 0
		.amdhsa_kernarg_size 256
		.amdhsa_user_sgpr_count 6
		.amdhsa_user_sgpr_private_segment_buffer 1
		.amdhsa_user_sgpr_dispatch_ptr 0
		.amdhsa_user_sgpr_queue_ptr 0
		.amdhsa_user_sgpr_kernarg_segment_ptr 1
		.amdhsa_user_sgpr_dispatch_id 0
		.amdhsa_user_sgpr_flat_scratch_init 0
		.amdhsa_user_sgpr_private_segment_size 0
		.amdhsa_uses_dynamic_stack 0
		.amdhsa_system_sgpr_private_segment_wavefront_offset 0
		.amdhsa_system_sgpr_workgroup_id_x 1
		.amdhsa_system_sgpr_workgroup_id_y 0
		.amdhsa_system_sgpr_workgroup_id_z 0
		.amdhsa_system_sgpr_workgroup_info 0
		.amdhsa_system_vgpr_workitem_id 0
		.amdhsa_next_free_vgpr 4
		.amdhsa_next_free_sgpr 7
		.amdhsa_reserve_vcc 1
		.amdhsa_reserve_flat_scratch 0
		.amdhsa_float_round_mode_32 0
		.amdhsa_float_round_mode_16_64 0
		.amdhsa_float_denorm_mode_32 3
		.amdhsa_float_denorm_mode_16_64 3
		.amdhsa_dx10_clamp 1
		.amdhsa_ieee_mode 1
		.amdhsa_fp16_overflow 0
		.amdhsa_exception_fp_ieee_invalid_op 0
		.amdhsa_exception_fp_denorm_src 0
		.amdhsa_exception_fp_ieee_div_zero 0
		.amdhsa_exception_fp_ieee_overflow 0
		.amdhsa_exception_fp_ieee_underflow 0
		.amdhsa_exception_fp_ieee_inexact 0
		.amdhsa_exception_int_div_zero 0
	.end_amdhsa_kernel
	.text
.Lfunc_end5:
	.size	_Z15compress_matrixv, .Lfunc_end5-_Z15compress_matrixv
                                        ; -- End function
	.set _Z15compress_matrixv.num_vgpr, 4
	.set _Z15compress_matrixv.num_agpr, 0
	.set _Z15compress_matrixv.numbered_sgpr, 7
	.set _Z15compress_matrixv.num_named_barrier, 0
	.set _Z15compress_matrixv.private_seg_size, 0
	.set _Z15compress_matrixv.uses_vcc, 1
	.set _Z15compress_matrixv.uses_flat_scratch, 0
	.set _Z15compress_matrixv.has_dyn_sized_stack, 0
	.set _Z15compress_matrixv.has_recursion, 0
	.set _Z15compress_matrixv.has_indirect_call, 0
	.section	.AMDGPU.csdata,"",@progbits
; Kernel info:
; codeLenInByte = 316
; TotalNumSgprs: 11
; NumVgprs: 4
; ScratchSize: 0
; MemoryBound: 0
; FloatMode: 240
; IeeeMode: 1
; LDSByteSize: 0 bytes/workgroup (compile time only)
; SGPRBlocks: 1
; VGPRBlocks: 0
; NumSGPRsForWavesPerEU: 11
; NumVGPRsForWavesPerEU: 4
; Occupancy: 10
; WaveLimiterHint : 1
; COMPUTE_PGM_RSRC2:SCRATCH_EN: 0
; COMPUTE_PGM_RSRC2:USER_SGPR: 6
; COMPUTE_PGM_RSRC2:TRAP_HANDLER: 0
; COMPUTE_PGM_RSRC2:TGID_X_EN: 1
; COMPUTE_PGM_RSRC2:TGID_Y_EN: 0
; COMPUTE_PGM_RSRC2:TGID_Z_EN: 0
; COMPUTE_PGM_RSRC2:TIDIG_COMP_CNT: 0
	.text
	.protected	_Z6step_2v              ; -- Begin function _Z6step_2v
	.globl	_Z6step_2v
	.p2align	8
	.type	_Z6step_2v,@function
_Z6step_2v:                             ; @_Z6step_2v
; %bb.0:
	v_cmp_eq_u32_e64 s[0:1], 0, v0
	s_and_saveexec_b64 s[2:3], s[0:1]
; %bb.1:
	v_mov_b32_e32 v1, 0
	ds_write_b8 v1, v1
; %bb.2:
	s_or_b64 exec, exec, s[2:3]
	s_ashr_i32 s7, s6, 31
	s_lshl_b64 s[2:3], s[6:7], 2
	s_getpc_b64 s[8:9]
	s_add_u32 s8, s8, zeros_size_b@rel32@lo+4
	s_addc_u32 s9, s9, zeros_size_b@rel32@hi+12
	s_add_u32 s2, s8, s2
	s_addc_u32 s3, s9, s3
	s_lshl_b32 s14, s6, 19
	v_mov_b32_e32 v8, 0
	v_mov_b32_e32 v9, 1
	;; [unrolled: 1-line block ×3, first 2 shown]
	s_branch .LBB6_4
.LBB6_3:                                ;   in Loop: Header=BB6_4 Depth=1
	s_or_b64 exec, exec, s[6:7]
	s_waitcnt vmcnt(0) lgkmcnt(0)
	s_barrier
	ds_read_u8 v1, v8 offset:1
	s_waitcnt lgkmcnt(0)
	v_cmp_eq_u32_e32 vcc, 0, v1
	s_cbranch_vccnz .LBB6_16
.LBB6_4:                                ; =>This Loop Header: Depth=1
                                        ;     Child Loop BB6_9 Depth 2
	s_waitcnt lgkmcnt(0)
	s_barrier
	s_and_saveexec_b64 s[6:7], s[0:1]
; %bb.5:                                ;   in Loop: Header=BB6_4 Depth=1
	ds_write_b8 v8, v8 offset:1
; %bb.6:                                ;   in Loop: Header=BB6_4 Depth=1
	s_or_b64 exec, exec, s[6:7]
	s_waitcnt lgkmcnt(0)
	s_barrier
	global_load_dword v11, v8, s[2:3]
	s_waitcnt vmcnt(0)
	v_cmp_lt_i32_e32 vcc, v0, v11
	s_and_saveexec_b64 s[6:7], vcc
	s_cbranch_execz .LBB6_3
; %bb.7:                                ;   in Loop: Header=BB6_4 Depth=1
	s_load_dword s10, s[4:5], 0xc
	s_mov_b64 s[8:9], 0
	v_mov_b32_e32 v12, v0
	s_waitcnt lgkmcnt(0)
	s_and_b32 s15, s10, 0xffff
	s_branch .LBB6_9
.LBB6_8:                                ;   in Loop: Header=BB6_9 Depth=2
	s_or_b64 exec, exec, s[10:11]
	v_add_u32_e32 v12, s15, v12
	v_cmp_ge_i32_e32 vcc, v12, v11
	s_or_b64 s[8:9], vcc, s[8:9]
	s_andn2_b64 exec, exec, s[8:9]
	s_cbranch_execz .LBB6_3
.LBB6_9:                                ;   Parent Loop BB6_4 Depth=1
                                        ; =>  This Inner Loop Header: Depth=2
	v_add_u32_e32 v1, s14, v12
	v_ashrrev_i32_e32 v2, 31, v1
	v_lshlrev_b64 v[1:2], 2, v[1:2]
	s_getpc_b64 s[10:11]
	s_add_u32 s10, s10, zeros@rel32@lo+4
	s_addc_u32 s11, s11, zeros@rel32@hi+12
	v_mov_b32_e32 v3, s11
	v_add_co_u32_e32 v1, vcc, s10, v1
	v_addc_co_u32_e32 v2, vcc, v3, v2, vcc
	global_load_dword v1, v[1:2], off
	s_getpc_b64 s[12:13]
	s_add_u32 s12, s12, cover_row@rel32@lo+4
	s_addc_u32 s13, s13, cover_row@rel32@hi+12
	s_waitcnt vmcnt(0)
	v_and_b32_e32 v13, 0x3ff, v1
	v_lshlrev_b32_e32 v14, 2, v13
	global_load_dword v2, v14, s[12:13]
	s_waitcnt vmcnt(0)
	v_cmp_eq_u32_e32 vcc, 0, v2
	s_and_saveexec_b64 s[10:11], vcc
	s_cbranch_execz .LBB6_8
; %bb.10:                               ;   in Loop: Header=BB6_9 Depth=2
	v_ashrrev_i32_e32 v1, 10, v1
	v_ashrrev_i32_e32 v2, 31, v1
	v_lshlrev_b64 v[2:3], 2, v[1:2]
	s_getpc_b64 s[16:17]
	s_add_u32 s16, s16, cover_column@rel32@lo+4
	s_addc_u32 s17, s17, cover_column@rel32@hi+12
	v_mov_b32_e32 v5, s17
	v_add_co_u32_e32 v4, vcc, s16, v2
	v_addc_co_u32_e32 v5, vcc, v5, v3, vcc
	global_load_dword v6, v[4:5], off
	s_waitcnt vmcnt(0)
	v_cmp_eq_u32_e32 vcc, 0, v6
	s_and_b64 exec, exec, vcc
	s_cbranch_execz .LBB6_8
; %bb.11:                               ;   in Loop: Header=BB6_9 Depth=2
	v_mov_b32_e32 v7, s13
	v_add_co_u32_e32 v6, vcc, s12, v14
	v_addc_co_u32_e32 v7, vcc, 0, v7, vcc
	global_atomic_swap v15, v[6:7], v9, off glc
	s_waitcnt vmcnt(0)
	v_cmp_eq_u32_e32 vcc, 0, v15
	s_and_b64 exec, exec, vcc
	s_cbranch_execz .LBB6_8
; %bb.12:                               ;   in Loop: Header=BB6_9 Depth=2
	global_atomic_swap v4, v[4:5], v9, off glc
	s_waitcnt vmcnt(0)
	v_cmp_ne_u32_e32 vcc, 0, v4
	s_and_saveexec_b64 s[12:13], vcc
	s_xor_b64 s[12:13], exec, s[12:13]
	s_cbranch_execz .LBB6_14
; %bb.13:                               ;   in Loop: Header=BB6_9 Depth=2
	global_store_dword v[6:7], v8, off
	ds_write_b16 v8, v10
                                        ; implicit-def: $vgpr2_vgpr3
                                        ; implicit-def: $vgpr13
                                        ; implicit-def: $vgpr14
                                        ; implicit-def: $vgpr1
.LBB6_14:                               ;   in Loop: Header=BB6_9 Depth=2
	s_andn2_saveexec_b64 s[12:13], s[12:13]
	s_cbranch_execz .LBB6_8
; %bb.15:                               ;   in Loop: Header=BB6_9 Depth=2
	s_getpc_b64 s[12:13]
	s_add_u32 s12, s12, row_of_star_at_column@rel32@lo+4
	s_addc_u32 s13, s13, row_of_star_at_column@rel32@hi+12
	v_mov_b32_e32 v4, s13
	v_add_co_u32_e32 v2, vcc, s12, v2
	v_addc_co_u32_e32 v3, vcc, v4, v3, vcc
	s_getpc_b64 s[12:13]
	s_add_u32 s12, s12, column_of_star_at_row@rel32@lo+4
	s_addc_u32 s13, s13, column_of_star_at_row@rel32@hi+12
	global_store_dword v[2:3], v13, off
	global_store_dword v14, v1, s[12:13]
	s_branch .LBB6_8
.LBB6_16:
	v_mov_b32_e32 v0, 0
	ds_read_u8 v1, v0
	s_waitcnt lgkmcnt(0)
	v_and_b32_e32 v1, 1, v1
	v_cmp_eq_u32_e32 vcc, 0, v1
	s_cbranch_vccnz .LBB6_18
; %bb.17:
	s_getpc_b64 s[0:1]
	s_add_u32 s0, s0, repeat_kernel@rel32@lo+4
	s_addc_u32 s1, s1, repeat_kernel@rel32@hi+12
	global_load_dwordx2 v[0:1], v0, s[0:1]
	v_mov_b32_e32 v2, 1
	s_waitcnt vmcnt(0)
	global_store_byte v[0:1], v2, off
.LBB6_18:
	s_endpgm
	.section	.rodata,"a",@progbits
	.p2align	6, 0x0
	.amdhsa_kernel _Z6step_2v
		.amdhsa_group_segment_fixed_size 2
		.amdhsa_private_segment_fixed_size 0
		.amdhsa_kernarg_size 256
		.amdhsa_user_sgpr_count 6
		.amdhsa_user_sgpr_private_segment_buffer 1
		.amdhsa_user_sgpr_dispatch_ptr 0
		.amdhsa_user_sgpr_queue_ptr 0
		.amdhsa_user_sgpr_kernarg_segment_ptr 1
		.amdhsa_user_sgpr_dispatch_id 0
		.amdhsa_user_sgpr_flat_scratch_init 0
		.amdhsa_user_sgpr_private_segment_size 0
		.amdhsa_uses_dynamic_stack 0
		.amdhsa_system_sgpr_private_segment_wavefront_offset 0
		.amdhsa_system_sgpr_workgroup_id_x 1
		.amdhsa_system_sgpr_workgroup_id_y 0
		.amdhsa_system_sgpr_workgroup_id_z 0
		.amdhsa_system_sgpr_workgroup_info 0
		.amdhsa_system_vgpr_workitem_id 0
		.amdhsa_next_free_vgpr 16
		.amdhsa_next_free_sgpr 18
		.amdhsa_reserve_vcc 1
		.amdhsa_reserve_flat_scratch 0
		.amdhsa_float_round_mode_32 0
		.amdhsa_float_round_mode_16_64 0
		.amdhsa_float_denorm_mode_32 3
		.amdhsa_float_denorm_mode_16_64 3
		.amdhsa_dx10_clamp 1
		.amdhsa_ieee_mode 1
		.amdhsa_fp16_overflow 0
		.amdhsa_exception_fp_ieee_invalid_op 0
		.amdhsa_exception_fp_denorm_src 0
		.amdhsa_exception_fp_ieee_div_zero 0
		.amdhsa_exception_fp_ieee_overflow 0
		.amdhsa_exception_fp_ieee_underflow 0
		.amdhsa_exception_fp_ieee_inexact 0
		.amdhsa_exception_int_div_zero 0
	.end_amdhsa_kernel
	.text
.Lfunc_end6:
	.size	_Z6step_2v, .Lfunc_end6-_Z6step_2v
                                        ; -- End function
	.set _Z6step_2v.num_vgpr, 16
	.set _Z6step_2v.num_agpr, 0
	.set _Z6step_2v.numbered_sgpr, 18
	.set _Z6step_2v.num_named_barrier, 0
	.set _Z6step_2v.private_seg_size, 0
	.set _Z6step_2v.uses_vcc, 1
	.set _Z6step_2v.uses_flat_scratch, 0
	.set _Z6step_2v.has_dyn_sized_stack, 0
	.set _Z6step_2v.has_recursion, 0
	.set _Z6step_2v.has_indirect_call, 0
	.section	.AMDGPU.csdata,"",@progbits
; Kernel info:
; codeLenInByte = 656
; TotalNumSgprs: 22
; NumVgprs: 16
; ScratchSize: 0
; MemoryBound: 0
; FloatMode: 240
; IeeeMode: 1
; LDSByteSize: 2 bytes/workgroup (compile time only)
; SGPRBlocks: 2
; VGPRBlocks: 3
; NumSGPRsForWavesPerEU: 22
; NumVGPRsForWavesPerEU: 16
; Occupancy: 10
; WaveLimiterHint : 1
; COMPUTE_PGM_RSRC2:SCRATCH_EN: 0
; COMPUTE_PGM_RSRC2:USER_SGPR: 6
; COMPUTE_PGM_RSRC2:TRAP_HANDLER: 0
; COMPUTE_PGM_RSRC2:TGID_X_EN: 1
; COMPUTE_PGM_RSRC2:TGID_Y_EN: 0
; COMPUTE_PGM_RSRC2:TGID_Z_EN: 0
; COMPUTE_PGM_RSRC2:TIDIG_COMP_CNT: 0
	.text
	.protected	_Z9step_3iniv           ; -- Begin function _Z9step_3iniv
	.globl	_Z9step_3iniv
	.p2align	8
	.type	_Z9step_3iniv,@function
_Z9step_3iniv:                          ; @_Z9step_3iniv
; %bb.0:
	s_load_dword s2, s[4:5], 0xc
	s_getpc_b64 s[0:1]
	s_add_u32 s0, s0, cover_row@rel32@lo+4
	s_addc_u32 s1, s1, cover_row@rel32@hi+12
	v_mov_b32_e32 v5, s1
	s_waitcnt lgkmcnt(0)
	s_and_b32 s1, s2, 0xffff
	s_mul_i32 s6, s6, s1
	v_add_u32_e32 v1, s6, v0
	v_ashrrev_i32_e32 v2, 31, v1
	v_lshlrev_b64 v[2:3], 2, v[1:2]
	v_mov_b32_e32 v0, 0
	v_add_co_u32_e32 v4, vcc, s0, v2
	v_addc_co_u32_e32 v5, vcc, v5, v3, vcc
	s_getpc_b64 s[0:1]
	s_add_u32 s0, s0, cover_column@rel32@lo+4
	s_addc_u32 s1, s1, cover_column@rel32@hi+12
	global_store_dword v[4:5], v0, off
	v_mov_b32_e32 v4, s1
	v_add_co_u32_e32 v2, vcc, s0, v2
	v_addc_co_u32_e32 v3, vcc, v4, v3, vcc
	v_cmp_eq_u32_e32 vcc, 0, v1
	global_store_dword v[2:3], v0, off
	s_and_saveexec_b64 s[0:1], vcc
	s_cbranch_execz .LBB7_2
; %bb.1:
	s_getpc_b64 s[0:1]
	s_add_u32 s0, s0, n_matches@rel32@lo+4
	s_addc_u32 s1, s1, n_matches@rel32@hi+12
	s_load_dwordx2 s[0:1], s[0:1], 0x0
	s_waitcnt lgkmcnt(0)
	global_store_dword v0, v0, s[0:1]
.LBB7_2:
	s_endpgm
	.section	.rodata,"a",@progbits
	.p2align	6, 0x0
	.amdhsa_kernel _Z9step_3iniv
		.amdhsa_group_segment_fixed_size 0
		.amdhsa_private_segment_fixed_size 0
		.amdhsa_kernarg_size 256
		.amdhsa_user_sgpr_count 6
		.amdhsa_user_sgpr_private_segment_buffer 1
		.amdhsa_user_sgpr_dispatch_ptr 0
		.amdhsa_user_sgpr_queue_ptr 0
		.amdhsa_user_sgpr_kernarg_segment_ptr 1
		.amdhsa_user_sgpr_dispatch_id 0
		.amdhsa_user_sgpr_flat_scratch_init 0
		.amdhsa_user_sgpr_private_segment_size 0
		.amdhsa_uses_dynamic_stack 0
		.amdhsa_system_sgpr_private_segment_wavefront_offset 0
		.amdhsa_system_sgpr_workgroup_id_x 1
		.amdhsa_system_sgpr_workgroup_id_y 0
		.amdhsa_system_sgpr_workgroup_id_z 0
		.amdhsa_system_sgpr_workgroup_info 0
		.amdhsa_system_vgpr_workitem_id 0
		.amdhsa_next_free_vgpr 6
		.amdhsa_next_free_sgpr 7
		.amdhsa_reserve_vcc 1
		.amdhsa_reserve_flat_scratch 0
		.amdhsa_float_round_mode_32 0
		.amdhsa_float_round_mode_16_64 0
		.amdhsa_float_denorm_mode_32 3
		.amdhsa_float_denorm_mode_16_64 3
		.amdhsa_dx10_clamp 1
		.amdhsa_ieee_mode 1
		.amdhsa_fp16_overflow 0
		.amdhsa_exception_fp_ieee_invalid_op 0
		.amdhsa_exception_fp_denorm_src 0
		.amdhsa_exception_fp_ieee_div_zero 0
		.amdhsa_exception_fp_ieee_overflow 0
		.amdhsa_exception_fp_ieee_underflow 0
		.amdhsa_exception_fp_ieee_inexact 0
		.amdhsa_exception_int_div_zero 0
	.end_amdhsa_kernel
	.text
.Lfunc_end7:
	.size	_Z9step_3iniv, .Lfunc_end7-_Z9step_3iniv
                                        ; -- End function
	.set _Z9step_3iniv.num_vgpr, 6
	.set _Z9step_3iniv.num_agpr, 0
	.set _Z9step_3iniv.numbered_sgpr, 7
	.set _Z9step_3iniv.num_named_barrier, 0
	.set _Z9step_3iniv.private_seg_size, 0
	.set _Z9step_3iniv.uses_vcc, 1
	.set _Z9step_3iniv.uses_flat_scratch, 0
	.set _Z9step_3iniv.has_dyn_sized_stack, 0
	.set _Z9step_3iniv.has_recursion, 0
	.set _Z9step_3iniv.has_indirect_call, 0
	.section	.AMDGPU.csdata,"",@progbits
; Kernel info:
; codeLenInByte = 180
; TotalNumSgprs: 11
; NumVgprs: 6
; ScratchSize: 0
; MemoryBound: 0
; FloatMode: 240
; IeeeMode: 1
; LDSByteSize: 0 bytes/workgroup (compile time only)
; SGPRBlocks: 1
; VGPRBlocks: 1
; NumSGPRsForWavesPerEU: 11
; NumVGPRsForWavesPerEU: 6
; Occupancy: 10
; WaveLimiterHint : 1
; COMPUTE_PGM_RSRC2:SCRATCH_EN: 0
; COMPUTE_PGM_RSRC2:USER_SGPR: 6
; COMPUTE_PGM_RSRC2:TRAP_HANDLER: 0
; COMPUTE_PGM_RSRC2:TGID_X_EN: 1
; COMPUTE_PGM_RSRC2:TGID_Y_EN: 0
; COMPUTE_PGM_RSRC2:TGID_Z_EN: 0
; COMPUTE_PGM_RSRC2:TIDIG_COMP_CNT: 0
	.text
	.protected	_Z6step_3v              ; -- Begin function _Z6step_3v
	.globl	_Z6step_3v
	.p2align	8
	.type	_Z6step_3v,@function
_Z6step_3v:                             ; @_Z6step_3v
; %bb.0:
	s_load_dword s2, s[4:5], 0xc
	s_getpc_b64 s[0:1]
	s_add_u32 s0, s0, row_of_star_at_column@rel32@lo+4
	s_addc_u32 s1, s1, row_of_star_at_column@rel32@hi+12
	v_mov_b32_e32 v3, s1
	s_waitcnt lgkmcnt(0)
	s_and_b32 s1, s2, 0xffff
	s_mul_i32 s6, s6, s1
	v_add_u32_e32 v0, s6, v0
	v_ashrrev_i32_e32 v1, 31, v0
	v_lshlrev_b64 v[0:1], 2, v[0:1]
	v_add_co_u32_e32 v2, vcc, s0, v0
	v_addc_co_u32_e32 v3, vcc, v3, v1, vcc
	global_load_dword v2, v[2:3], off
	s_waitcnt vmcnt(0)
	v_cmp_lt_i32_e32 vcc, -1, v2
	s_and_saveexec_b64 s[0:1], vcc
	s_cbranch_execz .LBB8_3
; %bb.1:
	s_getpc_b64 s[2:3]
	s_add_u32 s2, s2, cover_column@rel32@lo+4
	s_addc_u32 s3, s3, cover_column@rel32@hi+12
	v_mov_b32_e32 v2, s3
	v_add_co_u32_e32 v0, vcc, s2, v0
	s_mov_b64 s[0:1], exec
	v_addc_co_u32_e32 v1, vcc, v2, v1, vcc
	v_mov_b32_e32 v2, 1
	global_store_dword v[0:1], v2, off
	v_mbcnt_lo_u32_b32 v0, s0, 0
	v_mbcnt_hi_u32_b32 v0, s1, v0
	v_cmp_eq_u32_e32 vcc, 0, v0
	s_and_b64 s[2:3], exec, vcc
	s_mov_b64 exec, s[2:3]
	s_cbranch_execz .LBB8_3
; %bb.2:
	s_getpc_b64 s[2:3]
	s_add_u32 s2, s2, n_matches@rel32@lo+4
	s_addc_u32 s3, s3, n_matches@rel32@hi+12
	s_load_dwordx2 s[2:3], s[2:3], 0x0
	s_bcnt1_i32_b64 s0, s[0:1]
	v_mov_b32_e32 v0, 0
	v_mov_b32_e32 v1, s0
	s_waitcnt lgkmcnt(0)
	global_atomic_add v0, v1, s[2:3]
.LBB8_3:
	s_endpgm
	.section	.rodata,"a",@progbits
	.p2align	6, 0x0
	.amdhsa_kernel _Z6step_3v
		.amdhsa_group_segment_fixed_size 0
		.amdhsa_private_segment_fixed_size 0
		.amdhsa_kernarg_size 256
		.amdhsa_user_sgpr_count 6
		.amdhsa_user_sgpr_private_segment_buffer 1
		.amdhsa_user_sgpr_dispatch_ptr 0
		.amdhsa_user_sgpr_queue_ptr 0
		.amdhsa_user_sgpr_kernarg_segment_ptr 1
		.amdhsa_user_sgpr_dispatch_id 0
		.amdhsa_user_sgpr_flat_scratch_init 0
		.amdhsa_user_sgpr_private_segment_size 0
		.amdhsa_uses_dynamic_stack 0
		.amdhsa_system_sgpr_private_segment_wavefront_offset 0
		.amdhsa_system_sgpr_workgroup_id_x 1
		.amdhsa_system_sgpr_workgroup_id_y 0
		.amdhsa_system_sgpr_workgroup_id_z 0
		.amdhsa_system_sgpr_workgroup_info 0
		.amdhsa_system_vgpr_workitem_id 0
		.amdhsa_next_free_vgpr 4
		.amdhsa_next_free_sgpr 7
		.amdhsa_reserve_vcc 1
		.amdhsa_reserve_flat_scratch 0
		.amdhsa_float_round_mode_32 0
		.amdhsa_float_round_mode_16_64 0
		.amdhsa_float_denorm_mode_32 3
		.amdhsa_float_denorm_mode_16_64 3
		.amdhsa_dx10_clamp 1
		.amdhsa_ieee_mode 1
		.amdhsa_fp16_overflow 0
		.amdhsa_exception_fp_ieee_invalid_op 0
		.amdhsa_exception_fp_denorm_src 0
		.amdhsa_exception_fp_ieee_div_zero 0
		.amdhsa_exception_fp_ieee_overflow 0
		.amdhsa_exception_fp_ieee_underflow 0
		.amdhsa_exception_fp_ieee_inexact 0
		.amdhsa_exception_int_div_zero 0
	.end_amdhsa_kernel
	.text
.Lfunc_end8:
	.size	_Z6step_3v, .Lfunc_end8-_Z6step_3v
                                        ; -- End function
	.set _Z6step_3v.num_vgpr, 4
	.set _Z6step_3v.num_agpr, 0
	.set _Z6step_3v.numbered_sgpr, 7
	.set _Z6step_3v.num_named_barrier, 0
	.set _Z6step_3v.private_seg_size, 0
	.set _Z6step_3v.uses_vcc, 1
	.set _Z6step_3v.uses_flat_scratch, 0
	.set _Z6step_3v.has_dyn_sized_stack, 0
	.set _Z6step_3v.has_recursion, 0
	.set _Z6step_3v.has_indirect_call, 0
	.section	.AMDGPU.csdata,"",@progbits
; Kernel info:
; codeLenInByte = 232
; TotalNumSgprs: 11
; NumVgprs: 4
; ScratchSize: 0
; MemoryBound: 0
; FloatMode: 240
; IeeeMode: 1
; LDSByteSize: 0 bytes/workgroup (compile time only)
; SGPRBlocks: 1
; VGPRBlocks: 0
; NumSGPRsForWavesPerEU: 11
; NumVGPRsForWavesPerEU: 4
; Occupancy: 10
; WaveLimiterHint : 1
; COMPUTE_PGM_RSRC2:SCRATCH_EN: 0
; COMPUTE_PGM_RSRC2:USER_SGPR: 6
; COMPUTE_PGM_RSRC2:TRAP_HANDLER: 0
; COMPUTE_PGM_RSRC2:TGID_X_EN: 1
; COMPUTE_PGM_RSRC2:TGID_Y_EN: 0
; COMPUTE_PGM_RSRC2:TGID_Z_EN: 0
; COMPUTE_PGM_RSRC2:TIDIG_COMP_CNT: 0
	.text
	.protected	_Z11step_4_initv        ; -- Begin function _Z11step_4_initv
	.globl	_Z11step_4_initv
	.p2align	8
	.type	_Z11step_4_initv,@function
_Z11step_4_initv:                       ; @_Z11step_4_initv
; %bb.0:
	s_load_dword s2, s[4:5], 0xc
	s_getpc_b64 s[0:1]
	s_add_u32 s0, s0, column_of_prime_at_row@rel32@lo+4
	s_addc_u32 s1, s1, column_of_prime_at_row@rel32@hi+12
	v_mov_b32_e32 v3, s1
	v_mov_b32_e32 v4, -1
	s_waitcnt lgkmcnt(0)
	s_and_b32 s1, s2, 0xffff
	s_mul_i32 s6, s6, s1
	v_add_u32_e32 v0, s6, v0
	v_ashrrev_i32_e32 v1, 31, v0
	v_lshlrev_b64 v[0:1], 2, v[0:1]
	v_add_co_u32_e32 v2, vcc, s0, v0
	v_addc_co_u32_e32 v3, vcc, v3, v1, vcc
	s_getpc_b64 s[0:1]
	s_add_u32 s0, s0, row_of_green_at_column@rel32@lo+4
	s_addc_u32 s1, s1, row_of_green_at_column@rel32@hi+12
	global_store_dword v[2:3], v4, off
	v_mov_b32_e32 v2, s1
	v_add_co_u32_e32 v0, vcc, s0, v0
	v_addc_co_u32_e32 v1, vcc, v2, v1, vcc
	global_store_dword v[0:1], v4, off
	s_endpgm
	.section	.rodata,"a",@progbits
	.p2align	6, 0x0
	.amdhsa_kernel _Z11step_4_initv
		.amdhsa_group_segment_fixed_size 0
		.amdhsa_private_segment_fixed_size 0
		.amdhsa_kernarg_size 256
		.amdhsa_user_sgpr_count 6
		.amdhsa_user_sgpr_private_segment_buffer 1
		.amdhsa_user_sgpr_dispatch_ptr 0
		.amdhsa_user_sgpr_queue_ptr 0
		.amdhsa_user_sgpr_kernarg_segment_ptr 1
		.amdhsa_user_sgpr_dispatch_id 0
		.amdhsa_user_sgpr_flat_scratch_init 0
		.amdhsa_user_sgpr_private_segment_size 0
		.amdhsa_uses_dynamic_stack 0
		.amdhsa_system_sgpr_private_segment_wavefront_offset 0
		.amdhsa_system_sgpr_workgroup_id_x 1
		.amdhsa_system_sgpr_workgroup_id_y 0
		.amdhsa_system_sgpr_workgroup_id_z 0
		.amdhsa_system_sgpr_workgroup_info 0
		.amdhsa_system_vgpr_workitem_id 0
		.amdhsa_next_free_vgpr 5
		.amdhsa_next_free_sgpr 7
		.amdhsa_reserve_vcc 1
		.amdhsa_reserve_flat_scratch 0
		.amdhsa_float_round_mode_32 0
		.amdhsa_float_round_mode_16_64 0
		.amdhsa_float_denorm_mode_32 3
		.amdhsa_float_denorm_mode_16_64 3
		.amdhsa_dx10_clamp 1
		.amdhsa_ieee_mode 1
		.amdhsa_fp16_overflow 0
		.amdhsa_exception_fp_ieee_invalid_op 0
		.amdhsa_exception_fp_denorm_src 0
		.amdhsa_exception_fp_ieee_div_zero 0
		.amdhsa_exception_fp_ieee_overflow 0
		.amdhsa_exception_fp_ieee_underflow 0
		.amdhsa_exception_fp_ieee_inexact 0
		.amdhsa_exception_int_div_zero 0
	.end_amdhsa_kernel
	.text
.Lfunc_end9:
	.size	_Z11step_4_initv, .Lfunc_end9-_Z11step_4_initv
                                        ; -- End function
	.set _Z11step_4_initv.num_vgpr, 5
	.set _Z11step_4_initv.num_agpr, 0
	.set _Z11step_4_initv.numbered_sgpr, 7
	.set _Z11step_4_initv.num_named_barrier, 0
	.set _Z11step_4_initv.private_seg_size, 0
	.set _Z11step_4_initv.uses_vcc, 1
	.set _Z11step_4_initv.uses_flat_scratch, 0
	.set _Z11step_4_initv.has_dyn_sized_stack, 0
	.set _Z11step_4_initv.has_recursion, 0
	.set _Z11step_4_initv.has_indirect_call, 0
	.section	.AMDGPU.csdata,"",@progbits
; Kernel info:
; codeLenInByte = 128
; TotalNumSgprs: 11
; NumVgprs: 5
; ScratchSize: 0
; MemoryBound: 0
; FloatMode: 240
; IeeeMode: 1
; LDSByteSize: 0 bytes/workgroup (compile time only)
; SGPRBlocks: 1
; VGPRBlocks: 1
; NumSGPRsForWavesPerEU: 11
; NumVGPRsForWavesPerEU: 5
; Occupancy: 10
; WaveLimiterHint : 0
; COMPUTE_PGM_RSRC2:SCRATCH_EN: 0
; COMPUTE_PGM_RSRC2:USER_SGPR: 6
; COMPUTE_PGM_RSRC2:TRAP_HANDLER: 0
; COMPUTE_PGM_RSRC2:TGID_X_EN: 1
; COMPUTE_PGM_RSRC2:TGID_Y_EN: 0
; COMPUTE_PGM_RSRC2:TGID_Z_EN: 0
; COMPUTE_PGM_RSRC2:TIDIG_COMP_CNT: 0
	.text
	.protected	_Z6step_4v              ; -- Begin function _Z6step_4v
	.globl	_Z6step_4v
	.p2align	8
	.type	_Z6step_4v,@function
_Z6step_4v:                             ; @_Z6step_4v
; %bb.0:
	v_cmp_eq_u32_e64 s[0:1], 0, v0
	s_and_saveexec_b64 s[2:3], s[0:1]
	s_cbranch_execz .LBB10_2
; %bb.1:
	v_mov_b32_e32 v1, 0
	ds_write_b8 v1, v1
	ds_write_b8 v1, v1 offset:2
.LBB10_2:
	s_or_b64 exec, exec, s[2:3]
	s_ashr_i32 s7, s6, 31
	s_lshl_b64 s[2:3], s[6:7], 2
	s_getpc_b64 s[8:9]
	s_add_u32 s8, s8, zeros_size_b@rel32@lo+4
	s_addc_u32 s9, s9, zeros_size_b@rel32@hi+12
	s_add_u32 s8, s8, s2
	s_addc_u32 s9, s9, s3
	s_lshl_b32 s14, s6, 19
	v_mov_b32_e32 v10, 0
	v_mov_b32_e32 v11, 0x101
	;; [unrolled: 1-line block ×3, first 2 shown]
	s_branch .LBB10_4
.LBB10_3:                               ;   in Loop: Header=BB10_4 Depth=1
	s_or_b64 exec, exec, s[6:7]
	s_barrier
	ds_read_u8 v1, v10 offset:1
	ds_read_u8 v2, v10 offset:2
	s_waitcnt lgkmcnt(1)
	v_readfirstlane_b32 s2, v1
	s_bitcmp1_b32 s2, 0
	s_waitcnt lgkmcnt(0)
	v_readfirstlane_b32 s2, v2
	s_cselect_b64 s[6:7], -1, 0
	s_bitcmp1_b32 s2, 0
	s_cselect_b64 s[2:3], -1, 0
	s_xor_b64 s[6:7], s[6:7], -1
	s_or_b64 s[6:7], s[6:7], s[2:3]
	s_and_b64 vcc, exec, s[6:7]
	s_cbranch_vccnz .LBB10_69
.LBB10_4:                               ; =>This Loop Header: Depth=1
                                        ;     Child Loop BB10_9 Depth 2
	s_waitcnt lgkmcnt(0)
	s_barrier
	s_and_saveexec_b64 s[2:3], s[0:1]
; %bb.5:                                ;   in Loop: Header=BB10_4 Depth=1
	ds_write_b8 v10, v10 offset:1
; %bb.6:                                ;   in Loop: Header=BB10_4 Depth=1
	s_or_b64 exec, exec, s[2:3]
	s_waitcnt lgkmcnt(0)
	s_barrier
	global_load_dword v1, v10, s[8:9]
	s_waitcnt vmcnt(0)
	v_cmp_lt_i32_e32 vcc, v0, v1
	s_and_saveexec_b64 s[6:7], vcc
	s_cbranch_execz .LBB10_3
; %bb.7:                                ;   in Loop: Header=BB10_4 Depth=1
	s_mov_b64 s[10:11], 0
	v_mov_b32_e32 v13, v0
	s_branch .LBB10_9
.LBB10_8:                               ;   in Loop: Header=BB10_9 Depth=2
	s_or_b64 exec, exec, s[12:13]
	global_load_dword v1, v10, s[8:9]
	s_load_dword s2, s[4:5], 0xc
	s_waitcnt lgkmcnt(0)
	s_and_b32 s2, s2, 0xffff
	v_add_u32_e32 v13, s2, v13
	s_waitcnt vmcnt(0)
	v_cmp_ge_i32_e32 vcc, v13, v1
	s_or_b64 s[10:11], vcc, s[10:11]
	s_andn2_b64 exec, exec, s[10:11]
	s_cbranch_execz .LBB10_3
.LBB10_9:                               ;   Parent Loop BB10_4 Depth=1
                                        ; =>  This Inner Loop Header: Depth=2
	v_add_u32_e32 v1, s14, v13
	v_ashrrev_i32_e32 v2, 31, v1
	v_lshlrev_b64 v[1:2], 2, v[1:2]
	s_getpc_b64 s[2:3]
	s_add_u32 s2, s2, zeros@rel32@lo+4
	s_addc_u32 s3, s3, zeros@rel32@hi+12
	v_mov_b32_e32 v3, s3
	v_add_co_u32_e32 v1, vcc, s2, v1
	v_addc_co_u32_e32 v2, vcc, v3, v2, vcc
	global_load_dword v1, v[1:2], off
	s_getpc_b64 s[2:3]
	s_add_u32 s2, s2, column_of_star_at_row@rel32@lo+4
	s_addc_u32 s3, s3, column_of_star_at_row@rel32@hi+12
	s_getpc_b64 s[12:13]
	s_add_u32 s12, s12, cover_column@rel32@lo+4
	s_addc_u32 s13, s13, cover_column@rel32@hi+12
	v_mov_b32_e32 v14, s13
	s_waitcnt vmcnt(0)
	v_and_b32_e32 v2, 0x3ff, v1
	v_ashrrev_i32_e32 v1, 10, v1
	v_lshlrev_b32_e32 v5, 2, v2
	global_load_dword v4, v5, s[2:3]
	v_ashrrev_i32_e32 v2, 31, v1
	v_lshlrev_b64 v[2:3], 2, v[1:2]
	s_getpc_b64 s[2:3]
	s_add_u32 s2, s2, cover_row@rel32@lo+4
	s_addc_u32 s3, s3, cover_row@rel32@hi+12
	v_add_co_u32_e32 v6, vcc, s12, v2
	v_addc_co_u32_e32 v7, vcc, v14, v3, vcc
	flat_load_dword v15, v[6:7] glc
	s_waitcnt vmcnt(0)
	v_mov_b32_e32 v3, s3
	v_add_co_u32_e32 v2, vcc, s2, v5
	s_getpc_b64 s[16:17]
	s_add_u32 s16, s16, column_of_prime_at_row@rel32@lo+4
	s_addc_u32 s17, s17, column_of_prime_at_row@rel32@hi+12
	v_addc_co_u32_e32 v3, vcc, 0, v3, vcc
	v_mov_b32_e32 v9, s17
	v_add_co_u32_e32 v8, vcc, s16, v5
	v_addc_co_u32_e32 v9, vcc, 0, v9, vcc
	v_ashrrev_i32_e32 v5, 31, v4
	v_cmp_gt_i64_e32 vcc, 0, v[4:5]
	v_lshlrev_b64 v[4:5], 2, v[4:5]
	v_add_co_u32_e64 v4, s[2:3], s12, v4
	v_addc_co_u32_e64 v5, s[2:3], v14, v5, s[2:3]
	s_waitcnt lgkmcnt(0)
	v_cmp_eq_u32_e64 s[2:3], 0, v15
	s_and_saveexec_b64 s[12:13], s[2:3]
	s_cbranch_execz .LBB10_15
; %bb.10:                               ;   in Loop: Header=BB10_9 Depth=2
	flat_load_dword v14, v[2:3] glc
	s_waitcnt vmcnt(0) lgkmcnt(0)
	v_cmp_eq_u32_e64 s[2:3], 0, v14
	s_and_b64 exec, exec, s[2:3]
	s_cbranch_execz .LBB10_15
; %bb.11:                               ;   in Loop: Header=BB10_9 Depth=2
	ds_write_b16 v10, v11
	global_store_dword v[8:9], v1, off
	s_and_saveexec_b64 s[2:3], vcc
	s_xor_b64 s[2:3], exec, s[2:3]
; %bb.12:                               ;   in Loop: Header=BB10_9 Depth=2
	ds_write_b8 v10, v12 offset:2
; %bb.13:                               ;   in Loop: Header=BB10_9 Depth=2
	s_andn2_saveexec_b64 s[2:3], s[2:3]
	s_cbranch_execz .LBB10_15
; %bb.14:                               ;   in Loop: Header=BB10_9 Depth=2
	flat_store_dword v[2:3], v12
	s_waitcnt vmcnt(0) lgkmcnt(0)
	buffer_wbinvl1_vol
	flat_store_dword v[4:5], v10
	s_waitcnt vmcnt(0)
.LBB10_15:                              ;   in Loop: Header=BB10_9 Depth=2
	s_or_b64 exec, exec, s[12:13]
	flat_load_dword v14, v[6:7] glc
	s_waitcnt vmcnt(0) lgkmcnt(0)
	v_cmp_eq_u32_e64 s[2:3], 0, v14
	s_and_saveexec_b64 s[12:13], s[2:3]
	s_cbranch_execz .LBB10_21
; %bb.16:                               ;   in Loop: Header=BB10_9 Depth=2
	flat_load_dword v14, v[2:3] glc
	s_waitcnt vmcnt(0) lgkmcnt(0)
	v_cmp_eq_u32_e64 s[2:3], 0, v14
	s_and_b64 exec, exec, s[2:3]
	s_cbranch_execz .LBB10_21
; %bb.17:                               ;   in Loop: Header=BB10_9 Depth=2
	ds_write_b16 v10, v11
	global_store_dword v[8:9], v1, off
	s_and_saveexec_b64 s[2:3], vcc
	s_xor_b64 s[2:3], exec, s[2:3]
; %bb.18:                               ;   in Loop: Header=BB10_9 Depth=2
	ds_write_b8 v10, v12 offset:2
; %bb.19:                               ;   in Loop: Header=BB10_9 Depth=2
	s_andn2_saveexec_b64 s[2:3], s[2:3]
	s_cbranch_execz .LBB10_21
; %bb.20:                               ;   in Loop: Header=BB10_9 Depth=2
	flat_store_dword v[2:3], v12
	s_waitcnt vmcnt(0) lgkmcnt(0)
	buffer_wbinvl1_vol
	flat_store_dword v[4:5], v10
	s_waitcnt vmcnt(0)
.LBB10_21:                              ;   in Loop: Header=BB10_9 Depth=2
	s_or_b64 exec, exec, s[12:13]
	flat_load_dword v14, v[6:7] glc
	s_waitcnt vmcnt(0) lgkmcnt(0)
	;; [unrolled: 29-line block ×9, first 2 shown]
	v_cmp_eq_u32_e64 s[2:3], 0, v6
	s_and_saveexec_b64 s[12:13], s[2:3]
	s_cbranch_execz .LBB10_8
; %bb.64:                               ;   in Loop: Header=BB10_9 Depth=2
	flat_load_dword v6, v[2:3] glc
	s_waitcnt vmcnt(0) lgkmcnt(0)
	v_cmp_eq_u32_e64 s[2:3], 0, v6
	s_and_b64 exec, exec, s[2:3]
	s_cbranch_execz .LBB10_8
; %bb.65:                               ;   in Loop: Header=BB10_9 Depth=2
	ds_write_b16 v10, v11
	global_store_dword v[8:9], v1, off
	s_and_saveexec_b64 s[2:3], vcc
	s_xor_b64 s[2:3], exec, s[2:3]
; %bb.66:                               ;   in Loop: Header=BB10_9 Depth=2
	ds_write_b8 v10, v12 offset:2
                                        ; implicit-def: $vgpr2_vgpr3
                                        ; implicit-def: $vgpr4_vgpr5
; %bb.67:                               ;   in Loop: Header=BB10_9 Depth=2
	s_andn2_saveexec_b64 s[2:3], s[2:3]
	s_cbranch_execz .LBB10_8
; %bb.68:                               ;   in Loop: Header=BB10_9 Depth=2
	flat_store_dword v[2:3], v12
	s_waitcnt vmcnt(0) lgkmcnt(0)
	buffer_wbinvl1_vol
	flat_store_dword v[4:5], v10
	s_waitcnt vmcnt(0)
	s_branch .LBB10_8
.LBB10_69:
	v_mov_b32_e32 v0, 0
	ds_read_u8 v1, v0
	s_waitcnt lgkmcnt(0)
	v_readfirstlane_b32 s4, v1
	s_bitcmp1_b32 s4, 0
	s_cselect_b64 s[4:5], -1, 0
	s_and_b64 s[6:7], s[0:1], s[4:5]
	s_and_saveexec_b64 s[4:5], s[6:7]
	s_cbranch_execnz .LBB10_72
; %bb.70:
	s_or_b64 exec, exec, s[4:5]
	s_and_b64 s[0:1], s[0:1], s[2:3]
	s_and_saveexec_b64 s[2:3], s[0:1]
	s_cbranch_execnz .LBB10_73
.LBB10_71:
	s_endpgm
.LBB10_72:
	s_getpc_b64 s[6:7]
	s_add_u32 s6, s6, repeat_kernel@rel32@lo+4
	s_addc_u32 s7, s7, repeat_kernel@rel32@hi+12
	global_load_dwordx2 v[0:1], v0, s[6:7]
	v_mov_b32_e32 v2, 1
	s_waitcnt vmcnt(0)
	global_store_byte v[0:1], v2, off
	s_or_b64 exec, exec, s[4:5]
	s_and_b64 s[0:1], s[0:1], s[2:3]
	s_and_saveexec_b64 s[2:3], s[0:1]
	s_cbranch_execz .LBB10_71
.LBB10_73:
	v_mov_b32_e32 v0, 0
	s_getpc_b64 s[0:1]
	s_add_u32 s0, s0, goto_5@rel32@lo+4
	s_addc_u32 s1, s1, goto_5@rel32@hi+12
	global_load_dwordx2 v[0:1], v0, s[0:1]
	v_mov_b32_e32 v2, 1
	s_waitcnt vmcnt(0)
	global_store_byte v[0:1], v2, off
	s_endpgm
	.section	.rodata,"a",@progbits
	.p2align	6, 0x0
	.amdhsa_kernel _Z6step_4v
		.amdhsa_group_segment_fixed_size 3
		.amdhsa_private_segment_fixed_size 0
		.amdhsa_kernarg_size 256
		.amdhsa_user_sgpr_count 6
		.amdhsa_user_sgpr_private_segment_buffer 1
		.amdhsa_user_sgpr_dispatch_ptr 0
		.amdhsa_user_sgpr_queue_ptr 0
		.amdhsa_user_sgpr_kernarg_segment_ptr 1
		.amdhsa_user_sgpr_dispatch_id 0
		.amdhsa_user_sgpr_flat_scratch_init 0
		.amdhsa_user_sgpr_private_segment_size 0
		.amdhsa_uses_dynamic_stack 0
		.amdhsa_system_sgpr_private_segment_wavefront_offset 0
		.amdhsa_system_sgpr_workgroup_id_x 1
		.amdhsa_system_sgpr_workgroup_id_y 0
		.amdhsa_system_sgpr_workgroup_id_z 0
		.amdhsa_system_sgpr_workgroup_info 0
		.amdhsa_system_vgpr_workitem_id 0
		.amdhsa_next_free_vgpr 16
		.amdhsa_next_free_sgpr 18
		.amdhsa_reserve_vcc 1
		.amdhsa_reserve_flat_scratch 0
		.amdhsa_float_round_mode_32 0
		.amdhsa_float_round_mode_16_64 0
		.amdhsa_float_denorm_mode_32 3
		.amdhsa_float_denorm_mode_16_64 3
		.amdhsa_dx10_clamp 1
		.amdhsa_ieee_mode 1
		.amdhsa_fp16_overflow 0
		.amdhsa_exception_fp_ieee_invalid_op 0
		.amdhsa_exception_fp_denorm_src 0
		.amdhsa_exception_fp_ieee_div_zero 0
		.amdhsa_exception_fp_ieee_overflow 0
		.amdhsa_exception_fp_ieee_underflow 0
		.amdhsa_exception_fp_ieee_inexact 0
		.amdhsa_exception_int_div_zero 0
	.end_amdhsa_kernel
	.text
.Lfunc_end10:
	.size	_Z6step_4v, .Lfunc_end10-_Z6step_4v
                                        ; -- End function
	.set _Z6step_4v.num_vgpr, 16
	.set _Z6step_4v.num_agpr, 0
	.set _Z6step_4v.numbered_sgpr, 18
	.set _Z6step_4v.num_named_barrier, 0
	.set _Z6step_4v.private_seg_size, 0
	.set _Z6step_4v.uses_vcc, 1
	.set _Z6step_4v.uses_flat_scratch, 0
	.set _Z6step_4v.has_dyn_sized_stack, 0
	.set _Z6step_4v.has_recursion, 0
	.set _Z6step_4v.has_indirect_call, 0
	.section	.AMDGPU.csdata,"",@progbits
; Kernel info:
; codeLenInByte = 2036
; TotalNumSgprs: 22
; NumVgprs: 16
; ScratchSize: 0
; MemoryBound: 0
; FloatMode: 240
; IeeeMode: 1
; LDSByteSize: 3 bytes/workgroup (compile time only)
; SGPRBlocks: 2
; VGPRBlocks: 3
; NumSGPRsForWavesPerEU: 22
; NumVGPRsForWavesPerEU: 16
; Occupancy: 10
; WaveLimiterHint : 1
; COMPUTE_PGM_RSRC2:SCRATCH_EN: 0
; COMPUTE_PGM_RSRC2:USER_SGPR: 6
; COMPUTE_PGM_RSRC2:TRAP_HANDLER: 0
; COMPUTE_PGM_RSRC2:TGID_X_EN: 1
; COMPUTE_PGM_RSRC2:TGID_Y_EN: 0
; COMPUTE_PGM_RSRC2:TGID_Z_EN: 0
; COMPUTE_PGM_RSRC2:TIDIG_COMP_CNT: 0
	.text
	.protected	_Z7step_5av             ; -- Begin function _Z7step_5av
	.globl	_Z7step_5av
	.p2align	8
	.type	_Z7step_5av,@function
_Z7step_5av:                            ; @_Z7step_5av
; %bb.0:
	s_load_dword s2, s[4:5], 0xc
	s_getpc_b64 s[0:1]
	s_add_u32 s0, s0, column_of_prime_at_row@rel32@lo+4
	s_addc_u32 s1, s1, column_of_prime_at_row@rel32@hi+12
	v_mov_b32_e32 v1, s1
	s_waitcnt lgkmcnt(0)
	s_and_b32 s1, s2, 0xffff
	s_mul_i32 s6, s6, s1
	v_add_u32_e32 v2, s6, v0
	v_ashrrev_i32_e32 v3, 31, v2
	v_lshlrev_b64 v[3:4], 2, v[2:3]
	v_add_co_u32_e32 v0, vcc, s0, v3
	v_addc_co_u32_e32 v1, vcc, v1, v4, vcc
	global_load_dword v0, v[0:1], off
	s_waitcnt vmcnt(0)
	v_cmp_lt_i32_e32 vcc, -1, v0
	s_and_saveexec_b64 s[0:1], vcc
	s_cbranch_execz .LBB11_5
; %bb.1:
	s_getpc_b64 s[0:1]
	s_add_u32 s0, s0, column_of_star_at_row@rel32@lo+4
	s_addc_u32 s1, s1, column_of_star_at_row@rel32@hi+12
	v_mov_b32_e32 v1, s1
	v_add_co_u32_e32 v3, vcc, s0, v3
	v_addc_co_u32_e32 v4, vcc, v1, v4, vcc
	global_load_dword v1, v[3:4], off
	s_waitcnt vmcnt(0)
	v_cmp_gt_i32_e32 vcc, 0, v1
	s_and_b64 exec, exec, vcc
	s_cbranch_execz .LBB11_5
; %bb.2:
	v_mov_b32_e32 v1, 0
	v_lshlrev_b64 v[3:4], 2, v[0:1]
	s_getpc_b64 s[0:1]
	s_add_u32 s0, s0, row_of_star_at_column@rel32@lo+4
	s_addc_u32 s1, s1, row_of_star_at_column@rel32@hi+12
	v_mov_b32_e32 v0, s1
	v_add_co_u32_e32 v5, vcc, s0, v3
	v_addc_co_u32_e32 v6, vcc, v0, v4, vcc
	global_load_dword v0, v[5:6], off
	s_getpc_b64 s[0:1]
	s_add_u32 s0, s0, row_of_green_at_column@rel32@lo+4
	s_addc_u32 s1, s1, row_of_green_at_column@rel32@hi+12
	v_mov_b32_e32 v5, s1
	v_add_co_u32_e32 v3, vcc, s0, v3
	v_addc_co_u32_e32 v4, vcc, v5, v4, vcc
	global_store_dword v[3:4], v2, off
	s_waitcnt vmcnt(1)
	v_cmp_lt_i32_e32 vcc, -1, v0
	s_and_b64 exec, exec, vcc
	s_cbranch_execz .LBB11_5
; %bb.3:
	s_mov_b64 s[0:1], 0
.LBB11_4:                               ; =>This Inner Loop Header: Depth=1
	v_lshlrev_b64 v[2:3], 2, v[0:1]
	s_getpc_b64 s[2:3]
	s_add_u32 s2, s2, column_of_prime_at_row@rel32@lo+4
	s_addc_u32 s3, s3, column_of_prime_at_row@rel32@hi+12
	v_mov_b32_e32 v4, s3
	v_add_co_u32_e32 v2, vcc, s2, v2
	v_addc_co_u32_e32 v3, vcc, v4, v3, vcc
	global_load_dword v2, v[2:3], off
	s_getpc_b64 s[2:3]
	s_add_u32 s2, s2, row_of_green_at_column@rel32@lo+4
	s_addc_u32 s3, s3, row_of_green_at_column@rel32@hi+12
	v_mov_b32_e32 v5, s3
	s_getpc_b64 s[4:5]
	s_add_u32 s4, s4, row_of_star_at_column@rel32@lo+4
	s_addc_u32 s5, s5, row_of_star_at_column@rel32@hi+12
	v_mov_b32_e32 v6, s5
	s_waitcnt vmcnt(0)
	v_ashrrev_i32_e32 v3, 31, v2
	v_lshlrev_b64 v[2:3], 2, v[2:3]
	v_add_co_u32_e32 v4, vcc, s2, v2
	v_addc_co_u32_e32 v5, vcc, v5, v3, vcc
	v_add_co_u32_e32 v2, vcc, s4, v2
	v_addc_co_u32_e32 v3, vcc, v6, v3, vcc
	global_store_dword v[4:5], v0, off
	global_load_dword v0, v[2:3], off
	s_waitcnt vmcnt(0)
	v_cmp_gt_i32_e32 vcc, 0, v0
	s_or_b64 s[0:1], vcc, s[0:1]
	s_andn2_b64 exec, exec, s[0:1]
	s_cbranch_execnz .LBB11_4
.LBB11_5:
	s_endpgm
	.section	.rodata,"a",@progbits
	.p2align	6, 0x0
	.amdhsa_kernel _Z7step_5av
		.amdhsa_group_segment_fixed_size 0
		.amdhsa_private_segment_fixed_size 0
		.amdhsa_kernarg_size 256
		.amdhsa_user_sgpr_count 6
		.amdhsa_user_sgpr_private_segment_buffer 1
		.amdhsa_user_sgpr_dispatch_ptr 0
		.amdhsa_user_sgpr_queue_ptr 0
		.amdhsa_user_sgpr_kernarg_segment_ptr 1
		.amdhsa_user_sgpr_dispatch_id 0
		.amdhsa_user_sgpr_flat_scratch_init 0
		.amdhsa_user_sgpr_private_segment_size 0
		.amdhsa_uses_dynamic_stack 0
		.amdhsa_system_sgpr_private_segment_wavefront_offset 0
		.amdhsa_system_sgpr_workgroup_id_x 1
		.amdhsa_system_sgpr_workgroup_id_y 0
		.amdhsa_system_sgpr_workgroup_id_z 0
		.amdhsa_system_sgpr_workgroup_info 0
		.amdhsa_system_vgpr_workitem_id 0
		.amdhsa_next_free_vgpr 7
		.amdhsa_next_free_sgpr 7
		.amdhsa_reserve_vcc 1
		.amdhsa_reserve_flat_scratch 0
		.amdhsa_float_round_mode_32 0
		.amdhsa_float_round_mode_16_64 0
		.amdhsa_float_denorm_mode_32 3
		.amdhsa_float_denorm_mode_16_64 3
		.amdhsa_dx10_clamp 1
		.amdhsa_ieee_mode 1
		.amdhsa_fp16_overflow 0
		.amdhsa_exception_fp_ieee_invalid_op 0
		.amdhsa_exception_fp_denorm_src 0
		.amdhsa_exception_fp_ieee_div_zero 0
		.amdhsa_exception_fp_ieee_overflow 0
		.amdhsa_exception_fp_ieee_underflow 0
		.amdhsa_exception_fp_ieee_inexact 0
		.amdhsa_exception_int_div_zero 0
	.end_amdhsa_kernel
	.text
.Lfunc_end11:
	.size	_Z7step_5av, .Lfunc_end11-_Z7step_5av
                                        ; -- End function
	.set _Z7step_5av.num_vgpr, 7
	.set _Z7step_5av.num_agpr, 0
	.set _Z7step_5av.numbered_sgpr, 7
	.set _Z7step_5av.num_named_barrier, 0
	.set _Z7step_5av.private_seg_size, 0
	.set _Z7step_5av.uses_vcc, 1
	.set _Z7step_5av.uses_flat_scratch, 0
	.set _Z7step_5av.has_dyn_sized_stack, 0
	.set _Z7step_5av.has_recursion, 0
	.set _Z7step_5av.has_indirect_call, 0
	.section	.AMDGPU.csdata,"",@progbits
; Kernel info:
; codeLenInByte = 432
; TotalNumSgprs: 11
; NumVgprs: 7
; ScratchSize: 0
; MemoryBound: 0
; FloatMode: 240
; IeeeMode: 1
; LDSByteSize: 0 bytes/workgroup (compile time only)
; SGPRBlocks: 1
; VGPRBlocks: 1
; NumSGPRsForWavesPerEU: 11
; NumVGPRsForWavesPerEU: 7
; Occupancy: 10
; WaveLimiterHint : 1
; COMPUTE_PGM_RSRC2:SCRATCH_EN: 0
; COMPUTE_PGM_RSRC2:USER_SGPR: 6
; COMPUTE_PGM_RSRC2:TRAP_HANDLER: 0
; COMPUTE_PGM_RSRC2:TGID_X_EN: 1
; COMPUTE_PGM_RSRC2:TGID_Y_EN: 0
; COMPUTE_PGM_RSRC2:TGID_Z_EN: 0
; COMPUTE_PGM_RSRC2:TIDIG_COMP_CNT: 0
	.text
	.protected	_Z7step_5bv             ; -- Begin function _Z7step_5bv
	.globl	_Z7step_5bv
	.p2align	8
	.type	_Z7step_5bv,@function
_Z7step_5bv:                            ; @_Z7step_5bv
; %bb.0:
	s_load_dword s2, s[4:5], 0xc
	s_getpc_b64 s[0:1]
	s_add_u32 s0, s0, row_of_green_at_column@rel32@lo+4
	s_addc_u32 s1, s1, row_of_green_at_column@rel32@hi+12
	v_mov_b32_e32 v4, s1
	s_waitcnt lgkmcnt(0)
	s_and_b32 s1, s2, 0xffff
	s_mul_i32 s6, s6, s1
	v_add_u32_e32 v2, s6, v0
	v_ashrrev_i32_e32 v3, 31, v2
	v_lshlrev_b64 v[0:1], 2, v[2:3]
	v_add_co_u32_e32 v3, vcc, s0, v0
	v_addc_co_u32_e32 v4, vcc, v4, v1, vcc
	global_load_dword v3, v[3:4], off
	s_waitcnt vmcnt(0)
	v_cmp_lt_i32_e32 vcc, -1, v3
	s_and_saveexec_b64 s[0:1], vcc
	s_cbranch_execz .LBB12_5
; %bb.1:
	s_getpc_b64 s[0:1]
	s_add_u32 s0, s0, row_of_star_at_column@rel32@lo+4
	s_addc_u32 s1, s1, row_of_star_at_column@rel32@hi+12
	v_mov_b32_e32 v4, s1
	v_add_co_u32_e32 v5, vcc, s0, v0
	v_addc_co_u32_e32 v6, vcc, v4, v1, vcc
	global_load_dword v0, v[5:6], off
	s_waitcnt vmcnt(0)
	v_cmp_gt_i32_e32 vcc, 0, v0
	s_and_b64 exec, exec, vcc
	s_cbranch_execz .LBB12_5
; %bb.2:
	v_mov_b32_e32 v1, 0
	v_mov_b32_e32 v4, v1
	v_lshlrev_b64 v[7:8], 2, v[3:4]
	s_getpc_b64 s[0:1]
	s_add_u32 s0, s0, column_of_star_at_row@rel32@lo+4
	s_addc_u32 s1, s1, column_of_star_at_row@rel32@hi+12
	v_mov_b32_e32 v0, s1
	v_add_co_u32_e32 v7, vcc, s0, v7
	v_addc_co_u32_e32 v8, vcc, v0, v8, vcc
	global_load_dword v0, v[7:8], off
	s_nop 0
	global_store_dword v[7:8], v2, off
	global_store_dword v[5:6], v3, off
	s_waitcnt vmcnt(2)
	v_cmp_lt_i32_e32 vcc, -1, v0
	s_and_b64 exec, exec, vcc
	s_cbranch_execz .LBB12_5
; %bb.3:
	s_mov_b64 s[0:1], 0
.LBB12_4:                               ; =>This Inner Loop Header: Depth=1
	v_lshlrev_b64 v[2:3], 2, v[0:1]
	s_getpc_b64 s[2:3]
	s_add_u32 s2, s2, row_of_green_at_column@rel32@lo+4
	s_addc_u32 s3, s3, row_of_green_at_column@rel32@hi+12
	v_mov_b32_e32 v5, s3
	v_add_co_u32_e32 v4, vcc, s2, v2
	v_addc_co_u32_e32 v5, vcc, v5, v3, vcc
	global_load_dword v4, v[4:5], off
	s_getpc_b64 s[2:3]
	s_add_u32 s2, s2, column_of_star_at_row@rel32@lo+4
	s_addc_u32 s3, s3, column_of_star_at_row@rel32@hi+12
	v_mov_b32_e32 v7, s3
	s_waitcnt vmcnt(0)
	v_ashrrev_i32_e32 v5, 31, v4
	v_lshlrev_b64 v[5:6], 2, v[4:5]
	v_add_co_u32_e32 v5, vcc, s2, v5
	v_addc_co_u32_e32 v6, vcc, v7, v6, vcc
	global_load_dword v7, v[5:6], off
	s_getpc_b64 s[2:3]
	s_add_u32 s2, s2, row_of_star_at_column@rel32@lo+4
	s_addc_u32 s3, s3, row_of_star_at_column@rel32@hi+12
	v_mov_b32_e32 v8, s3
	v_add_co_u32_e32 v2, vcc, s2, v2
	v_addc_co_u32_e32 v3, vcc, v8, v3, vcc
	global_store_dword v[2:3], v4, off
	global_store_dword v[5:6], v0, off
	s_waitcnt vmcnt(2)
	v_cmp_gt_i32_e32 vcc, 0, v7
	s_or_b64 s[0:1], vcc, s[0:1]
	v_mov_b32_e32 v0, v7
	s_andn2_b64 exec, exec, s[0:1]
	s_cbranch_execnz .LBB12_4
.LBB12_5:
	s_endpgm
	.section	.rodata,"a",@progbits
	.p2align	6, 0x0
	.amdhsa_kernel _Z7step_5bv
		.amdhsa_group_segment_fixed_size 0
		.amdhsa_private_segment_fixed_size 0
		.amdhsa_kernarg_size 256
		.amdhsa_user_sgpr_count 6
		.amdhsa_user_sgpr_private_segment_buffer 1
		.amdhsa_user_sgpr_dispatch_ptr 0
		.amdhsa_user_sgpr_queue_ptr 0
		.amdhsa_user_sgpr_kernarg_segment_ptr 1
		.amdhsa_user_sgpr_dispatch_id 0
		.amdhsa_user_sgpr_flat_scratch_init 0
		.amdhsa_user_sgpr_private_segment_size 0
		.amdhsa_uses_dynamic_stack 0
		.amdhsa_system_sgpr_private_segment_wavefront_offset 0
		.amdhsa_system_sgpr_workgroup_id_x 1
		.amdhsa_system_sgpr_workgroup_id_y 0
		.amdhsa_system_sgpr_workgroup_id_z 0
		.amdhsa_system_sgpr_workgroup_info 0
		.amdhsa_system_vgpr_workitem_id 0
		.amdhsa_next_free_vgpr 9
		.amdhsa_next_free_sgpr 7
		.amdhsa_reserve_vcc 1
		.amdhsa_reserve_flat_scratch 0
		.amdhsa_float_round_mode_32 0
		.amdhsa_float_round_mode_16_64 0
		.amdhsa_float_denorm_mode_32 3
		.amdhsa_float_denorm_mode_16_64 3
		.amdhsa_dx10_clamp 1
		.amdhsa_ieee_mode 1
		.amdhsa_fp16_overflow 0
		.amdhsa_exception_fp_ieee_invalid_op 0
		.amdhsa_exception_fp_denorm_src 0
		.amdhsa_exception_fp_ieee_div_zero 0
		.amdhsa_exception_fp_ieee_overflow 0
		.amdhsa_exception_fp_ieee_underflow 0
		.amdhsa_exception_fp_ieee_inexact 0
		.amdhsa_exception_int_div_zero 0
	.end_amdhsa_kernel
	.text
.Lfunc_end12:
	.size	_Z7step_5bv, .Lfunc_end12-_Z7step_5bv
                                        ; -- End function
	.set _Z7step_5bv.num_vgpr, 9
	.set _Z7step_5bv.num_agpr, 0
	.set _Z7step_5bv.numbered_sgpr, 7
	.set _Z7step_5bv.num_named_barrier, 0
	.set _Z7step_5bv.private_seg_size, 0
	.set _Z7step_5bv.uses_vcc, 1
	.set _Z7step_5bv.uses_flat_scratch, 0
	.set _Z7step_5bv.has_dyn_sized_stack, 0
	.set _Z7step_5bv.has_recursion, 0
	.set _Z7step_5bv.has_indirect_call, 0
	.section	.AMDGPU.csdata,"",@progbits
; Kernel info:
; codeLenInByte = 428
; TotalNumSgprs: 11
; NumVgprs: 9
; ScratchSize: 0
; MemoryBound: 0
; FloatMode: 240
; IeeeMode: 1
; LDSByteSize: 0 bytes/workgroup (compile time only)
; SGPRBlocks: 1
; VGPRBlocks: 2
; NumSGPRsForWavesPerEU: 11
; NumVGPRsForWavesPerEU: 9
; Occupancy: 10
; WaveLimiterHint : 1
; COMPUTE_PGM_RSRC2:SCRATCH_EN: 0
; COMPUTE_PGM_RSRC2:USER_SGPR: 6
; COMPUTE_PGM_RSRC2:TRAP_HANDLER: 0
; COMPUTE_PGM_RSRC2:TGID_X_EN: 1
; COMPUTE_PGM_RSRC2:TGID_Y_EN: 0
; COMPUTE_PGM_RSRC2:TGID_Z_EN: 0
; COMPUTE_PGM_RSRC2:TIDIG_COMP_CNT: 0
	.text
	.protected	_Z14step_6_add_subv     ; -- Begin function _Z14step_6_add_subv
	.globl	_Z14step_6_add_subv
	.p2align	8
	.type	_Z14step_6_add_subv,@function
_Z14step_6_add_subv:                    ; @_Z14step_6_add_subv
; %bb.0:
	s_load_dword s0, s[4:5], 0xc
	s_waitcnt lgkmcnt(0)
	s_and_b32 s0, s0, 0xffff
	s_mul_i32 s6, s6, s0
	v_add_u32_e32 v0, s6, v0
	v_and_b32_e32 v1, 0x3ff, v0
	v_lshlrev_b32_e32 v1, 2, v1
	s_getpc_b64 s[0:1]
	s_add_u32 s0, s0, cover_row@rel32@lo+4
	s_addc_u32 s1, s1, cover_row@rel32@hi+12
	global_load_dword v2, v1, s[0:1]
	v_ashrrev_i32_e32 v1, 10, v0
	s_waitcnt vmcnt(0)
	v_cmp_lt_i32_e32 vcc, 0, v2
	s_and_saveexec_b64 s[0:1], vcc
	s_xor_b64 s[0:1], exec, s[0:1]
	s_cbranch_execnz .LBB13_5
; %bb.1:
	s_andn2_saveexec_b64 s[0:1], s[0:1]
	s_cbranch_execnz .LBB13_9
.LBB13_2:
	s_or_b64 exec, exec, s[0:1]
	v_cmp_eq_u32_e32 vcc, 0, v0
	s_and_saveexec_b64 s[0:1], vcc
	s_cbranch_execnz .LBB13_13
.LBB13_3:
	s_or_b64 exec, exec, s[0:1]
	v_cmp_gt_i32_e32 vcc, 2, v0
	s_and_saveexec_b64 s[0:1], vcc
	s_cbranch_execnz .LBB13_14
.LBB13_4:
	s_endpgm
.LBB13_5:
	v_cmp_eq_u32_e32 vcc, 1, v2
	s_and_saveexec_b64 s[2:3], vcc
	s_cbranch_execz .LBB13_8
; %bb.6:
	v_ashrrev_i32_e32 v2, 31, v1
	v_lshlrev_b64 v[1:2], 2, v[1:2]
	s_getpc_b64 s[4:5]
	s_add_u32 s4, s4, cover_column@rel32@lo+4
	s_addc_u32 s5, s5, cover_column@rel32@hi+12
	v_mov_b32_e32 v3, s5
	v_add_co_u32_e32 v1, vcc, s4, v1
	v_addc_co_u32_e32 v2, vcc, v3, v2, vcc
	global_load_dword v1, v[1:2], off
	s_waitcnt vmcnt(0)
	v_cmp_eq_u32_e32 vcc, 1, v1
	s_and_b64 exec, exec, vcc
	s_cbranch_execz .LBB13_8
; %bb.7:
	v_ashrrev_i32_e32 v1, 31, v0
	v_lshlrev_b64 v[1:2], 2, v[0:1]
	s_getpc_b64 s[4:5]
	s_add_u32 s4, s4, slack@rel32@lo+4
	s_addc_u32 s5, s5, slack@rel32@hi+12
	v_mov_b32_e32 v3, s5
	v_add_co_u32_e32 v1, vcc, s4, v1
	v_addc_co_u32_e32 v2, vcc, v3, v2, vcc
	global_load_dword v3, v[1:2], off
	s_getpc_b64 s[4:5]
	s_add_u32 s4, s4, d_min_in_mat@rel32@lo+4
	s_addc_u32 s5, s5, d_min_in_mat@rel32@hi+12
	s_load_dword s4, s[4:5], 0x0
	s_waitcnt vmcnt(0) lgkmcnt(0)
	v_add_u32_e32 v3, s4, v3
	global_store_dword v[1:2], v3, off
.LBB13_8:
	s_or_b64 exec, exec, s[2:3]
                                        ; implicit-def: $vgpr2
                                        ; implicit-def: $vgpr1
	s_andn2_saveexec_b64 s[0:1], s[0:1]
	s_cbranch_execz .LBB13_2
.LBB13_9:
	v_cmp_eq_u32_e32 vcc, 0, v2
	s_and_saveexec_b64 s[2:3], vcc
	s_cbranch_execz .LBB13_12
; %bb.10:
	v_ashrrev_i32_e32 v2, 31, v1
	v_lshlrev_b64 v[1:2], 2, v[1:2]
	s_getpc_b64 s[4:5]
	s_add_u32 s4, s4, cover_column@rel32@lo+4
	s_addc_u32 s5, s5, cover_column@rel32@hi+12
	v_mov_b32_e32 v3, s5
	v_add_co_u32_e32 v1, vcc, s4, v1
	v_addc_co_u32_e32 v2, vcc, v3, v2, vcc
	global_load_dword v1, v[1:2], off
	s_waitcnt vmcnt(0)
	v_cmp_eq_u32_e32 vcc, 0, v1
	s_and_b64 exec, exec, vcc
	s_cbranch_execz .LBB13_12
; %bb.11:
	v_ashrrev_i32_e32 v1, 31, v0
	v_lshlrev_b64 v[1:2], 2, v[0:1]
	s_getpc_b64 s[4:5]
	s_add_u32 s4, s4, slack@rel32@lo+4
	s_addc_u32 s5, s5, slack@rel32@hi+12
	v_mov_b32_e32 v3, s5
	v_add_co_u32_e32 v1, vcc, s4, v1
	v_addc_co_u32_e32 v2, vcc, v3, v2, vcc
	global_load_dword v3, v[1:2], off
	s_getpc_b64 s[4:5]
	s_add_u32 s4, s4, d_min_in_mat@rel32@lo+4
	s_addc_u32 s5, s5, d_min_in_mat@rel32@hi+12
	s_load_dword s4, s[4:5], 0x0
	s_waitcnt vmcnt(0) lgkmcnt(0)
	v_subrev_u32_e32 v3, s4, v3
	global_store_dword v[1:2], v3, off
.LBB13_12:
	s_or_b64 exec, exec, s[2:3]
	s_or_b64 exec, exec, s[0:1]
	v_cmp_eq_u32_e32 vcc, 0, v0
	s_and_saveexec_b64 s[0:1], vcc
	s_cbranch_execz .LBB13_3
.LBB13_13:
	s_getpc_b64 s[2:3]
	s_add_u32 s2, s2, zeros_size@rel32@lo+4
	s_addc_u32 s3, s3, zeros_size@rel32@hi+12
	s_load_dwordx2 s[2:3], s[2:3], 0x0
	v_mov_b32_e32 v1, 0
	s_waitcnt lgkmcnt(0)
	global_store_dword v1, v1, s[2:3]
	s_or_b64 exec, exec, s[0:1]
	v_cmp_gt_i32_e32 vcc, 2, v0
	s_and_saveexec_b64 s[0:1], vcc
	s_cbranch_execz .LBB13_4
.LBB13_14:
	v_ashrrev_i32_e32 v1, 31, v0
	v_lshlrev_b64 v[0:1], 2, v[0:1]
	s_getpc_b64 s[0:1]
	s_add_u32 s0, s0, zeros_size_b@rel32@lo+4
	s_addc_u32 s1, s1, zeros_size_b@rel32@hi+12
	v_mov_b32_e32 v2, s1
	v_add_co_u32_e32 v0, vcc, s0, v0
	v_addc_co_u32_e32 v1, vcc, v2, v1, vcc
	v_mov_b32_e32 v2, 0
	global_store_dword v[0:1], v2, off
	s_endpgm
	.section	.rodata,"a",@progbits
	.p2align	6, 0x0
	.amdhsa_kernel _Z14step_6_add_subv
		.amdhsa_group_segment_fixed_size 0
		.amdhsa_private_segment_fixed_size 0
		.amdhsa_kernarg_size 256
		.amdhsa_user_sgpr_count 6
		.amdhsa_user_sgpr_private_segment_buffer 1
		.amdhsa_user_sgpr_dispatch_ptr 0
		.amdhsa_user_sgpr_queue_ptr 0
		.amdhsa_user_sgpr_kernarg_segment_ptr 1
		.amdhsa_user_sgpr_dispatch_id 0
		.amdhsa_user_sgpr_flat_scratch_init 0
		.amdhsa_user_sgpr_private_segment_size 0
		.amdhsa_uses_dynamic_stack 0
		.amdhsa_system_sgpr_private_segment_wavefront_offset 0
		.amdhsa_system_sgpr_workgroup_id_x 1
		.amdhsa_system_sgpr_workgroup_id_y 0
		.amdhsa_system_sgpr_workgroup_id_z 0
		.amdhsa_system_sgpr_workgroup_info 0
		.amdhsa_system_vgpr_workitem_id 0
		.amdhsa_next_free_vgpr 4
		.amdhsa_next_free_sgpr 7
		.amdhsa_reserve_vcc 1
		.amdhsa_reserve_flat_scratch 0
		.amdhsa_float_round_mode_32 0
		.amdhsa_float_round_mode_16_64 0
		.amdhsa_float_denorm_mode_32 3
		.amdhsa_float_denorm_mode_16_64 3
		.amdhsa_dx10_clamp 1
		.amdhsa_ieee_mode 1
		.amdhsa_fp16_overflow 0
		.amdhsa_exception_fp_ieee_invalid_op 0
		.amdhsa_exception_fp_denorm_src 0
		.amdhsa_exception_fp_ieee_div_zero 0
		.amdhsa_exception_fp_ieee_overflow 0
		.amdhsa_exception_fp_ieee_underflow 0
		.amdhsa_exception_fp_ieee_inexact 0
		.amdhsa_exception_int_div_zero 0
	.end_amdhsa_kernel
	.text
.Lfunc_end13:
	.size	_Z14step_6_add_subv, .Lfunc_end13-_Z14step_6_add_subv
                                        ; -- End function
	.set _Z14step_6_add_subv.num_vgpr, 4
	.set _Z14step_6_add_subv.num_agpr, 0
	.set _Z14step_6_add_subv.numbered_sgpr, 7
	.set _Z14step_6_add_subv.num_named_barrier, 0
	.set _Z14step_6_add_subv.private_seg_size, 0
	.set _Z14step_6_add_subv.uses_vcc, 1
	.set _Z14step_6_add_subv.uses_flat_scratch, 0
	.set _Z14step_6_add_subv.has_dyn_sized_stack, 0
	.set _Z14step_6_add_subv.has_recursion, 0
	.set _Z14step_6_add_subv.has_indirect_call, 0
	.section	.AMDGPU.csdata,"",@progbits
; Kernel info:
; codeLenInByte = 640
; TotalNumSgprs: 11
; NumVgprs: 4
; ScratchSize: 0
; MemoryBound: 0
; FloatMode: 240
; IeeeMode: 1
; LDSByteSize: 0 bytes/workgroup (compile time only)
; SGPRBlocks: 1
; VGPRBlocks: 0
; NumSGPRsForWavesPerEU: 11
; NumVGPRsForWavesPerEU: 4
; Occupancy: 10
; WaveLimiterHint : 1
; COMPUTE_PGM_RSRC2:SCRATCH_EN: 0
; COMPUTE_PGM_RSRC2:USER_SGPR: 6
; COMPUTE_PGM_RSRC2:TRAP_HANDLER: 0
; COMPUTE_PGM_RSRC2:TGID_X_EN: 1
; COMPUTE_PGM_RSRC2:TGID_Y_EN: 0
; COMPUTE_PGM_RSRC2:TGID_Z_EN: 0
; COMPUTE_PGM_RSRC2:TIDIG_COMP_CNT: 0
	.text
	.protected	_Z18min_reduce_kernel1v ; -- Begin function _Z18min_reduce_kernel1v
	.globl	_Z18min_reduce_kernel1v
	.p2align	8
	.type	_Z18min_reduce_kernel1v,@function
_Z18min_reduce_kernel1v:                ; @_Z18min_reduce_kernel1v
; %bb.0:
	v_lshl_add_u32 v2, s6, 9, v0
	s_mov_b32 s0, 0x100000
	v_lshl_add_u32 v1, v0, 2, 0
	v_bfrev_b32_e32 v4, -2
	v_cmp_gt_u32_e32 vcc, s0, v2
	ds_write_b32 v1, v4
	s_and_saveexec_b64 s[0:1], vcc
	s_cbranch_execz .LBB14_12
; %bb.1:
	s_load_dword s4, s[4:5], 0x0
	s_mov_b64 s[2:3], 0
	v_mov_b32_e32 v3, 0
	s_mov_b32 s12, 0xfffff
	s_waitcnt lgkmcnt(0)
	s_lshl_b32 s7, s4, 9
	s_branch .LBB14_4
.LBB14_2:                               ;   in Loop: Header=BB14_4 Depth=1
	s_or_b64 exec, exec, s[8:9]
.LBB14_3:                               ;   in Loop: Header=BB14_4 Depth=1
	s_or_b64 exec, exec, s[4:5]
	v_add_u32_e32 v2, s7, v2
	v_cmp_lt_u32_e32 vcc, s12, v2
	s_or_b64 s[2:3], vcc, s[2:3]
	s_waitcnt lgkmcnt(0)
	v_min_i32_e32 v4, v4, v5
	s_andn2_b64 exec, exec, s[2:3]
	s_cbranch_execz .LBB14_11
.LBB14_4:                               ; =>This Inner Loop Header: Depth=1
	v_and_b32_e32 v5, 0x3ff, v2
	v_lshlrev_b32_e32 v5, 2, v5
	s_getpc_b64 s[4:5]
	s_add_u32 s4, s4, cover_row@rel32@lo+4
	s_addc_u32 s5, s5, cover_row@rel32@hi+12
	global_load_dword v5, v5, s[4:5]
	s_waitcnt vmcnt(0)
	v_cmp_ne_u32_e32 vcc, 1, v5
	v_bfrev_b32_e32 v5, -2
	s_and_saveexec_b64 s[8:9], vcc
	s_cbranch_execz .LBB14_8
; %bb.5:                                ;   in Loop: Header=BB14_4 Depth=1
	v_lshrrev_b32_e32 v5, 8, v2
	v_and_b32_e32 v5, 0xfffffc, v5
	s_getpc_b64 s[10:11]
	s_add_u32 s10, s10, cover_column@rel32@lo+4
	s_addc_u32 s11, s11, cover_column@rel32@hi+12
	global_load_dword v5, v5, s[10:11]
	s_waitcnt vmcnt(0)
	v_cmp_ne_u32_e32 vcc, 1, v5
	v_bfrev_b32_e32 v5, -2
	s_and_saveexec_b64 s[10:11], vcc
	s_cbranch_execz .LBB14_7
; %bb.6:                                ;   in Loop: Header=BB14_4 Depth=1
	v_lshlrev_b64 v[5:6], 2, v[2:3]
	s_getpc_b64 s[14:15]
	s_add_u32 s14, s14, slack@rel32@lo+4
	s_addc_u32 s15, s15, slack@rel32@hi+12
	v_mov_b32_e32 v7, s15
	v_add_co_u32_e32 v5, vcc, s14, v5
	v_addc_co_u32_e32 v6, vcc, v7, v6, vcc
	flat_load_dword v5, v[5:6] glc
	s_waitcnt vmcnt(0)
.LBB14_7:                               ;   in Loop: Header=BB14_4 Depth=1
	s_or_b64 exec, exec, s[10:11]
.LBB14_8:                               ;   in Loop: Header=BB14_4 Depth=1
	s_or_b64 exec, exec, s[8:9]
	v_add_u32_e32 v6, 0x100, v2
	v_and_b32_e32 v7, 0x3ff, v6
	v_lshlrev_b32_e32 v7, 2, v7
	global_load_dword v7, v7, s[4:5]
	s_waitcnt vmcnt(0)
	v_cmp_ne_u32_e32 vcc, 1, v7
	s_and_saveexec_b64 s[4:5], vcc
	s_cbranch_execz .LBB14_3
; %bb.9:                                ;   in Loop: Header=BB14_4 Depth=1
	v_lshrrev_b32_e32 v6, 8, v6
	v_and_b32_e32 v6, 0xfffffc, v6
	s_getpc_b64 s[8:9]
	s_add_u32 s8, s8, cover_column@rel32@lo+4
	s_addc_u32 s9, s9, cover_column@rel32@hi+12
	global_load_dword v6, v6, s[8:9]
	s_waitcnt vmcnt(0)
	v_cmp_ne_u32_e32 vcc, 1, v6
	s_and_saveexec_b64 s[8:9], vcc
	s_cbranch_execz .LBB14_2
; %bb.10:                               ;   in Loop: Header=BB14_4 Depth=1
	v_lshlrev_b64 v[6:7], 2, v[2:3]
	s_getpc_b64 s[10:11]
	s_add_u32 s10, s10, slack@rel32@lo+1028
	s_addc_u32 s11, s11, slack@rel32@hi+1036
	v_mov_b32_e32 v8, s11
	v_add_co_u32_e32 v6, vcc, s10, v6
	v_addc_co_u32_e32 v7, vcc, v8, v7, vcc
	flat_load_dword v6, v[6:7] glc
	s_waitcnt vmcnt(0) lgkmcnt(0)
	v_min_i32_e32 v5, v5, v6
	s_branch .LBB14_2
.LBB14_11:
	s_or_b64 exec, exec, s[2:3]
	ds_write_b32 v1, v4
.LBB14_12:
	s_or_b64 exec, exec, s[0:1]
	s_movk_i32 s0, 0x80
	v_cmp_gt_u32_e32 vcc, s0, v0
	s_waitcnt lgkmcnt(0)
	s_barrier
	s_and_saveexec_b64 s[0:1], vcc
	s_cbranch_execz .LBB14_14
; %bb.13:
	ds_read2st64_b32 v[2:3], v1 offset1:2
	s_waitcnt lgkmcnt(0)
	v_min_i32_e32 v2, v2, v3
	ds_write_b32 v1, v2
.LBB14_14:
	s_or_b64 exec, exec, s[0:1]
	v_cmp_gt_u32_e32 vcc, 64, v0
	s_waitcnt lgkmcnt(0)
	s_barrier
	s_and_saveexec_b64 s[0:1], vcc
	s_cbranch_execz .LBB14_16
; %bb.15:
	ds_read2st64_b32 v[2:3], v1 offset1:1
	s_waitcnt lgkmcnt(0)
	v_min_i32_e32 v2, v2, v3
	ds_write_b32 v1, v2
.LBB14_16:
	s_or_b64 exec, exec, s[0:1]
	v_cmp_gt_u32_e32 vcc, 32, v0
	s_waitcnt lgkmcnt(0)
	s_barrier
	s_and_saveexec_b64 s[0:1], vcc
	s_cbranch_execz .LBB14_18
; %bb.17:
	s_mov_b64 s[2:3], src_shared_base
	v_mov_b32_e32 v2, s3
	v_add_u32_e32 v3, 0x80, v1
	v_mov_b32_e32 v4, s3
	flat_load_dword v5, v[1:2] glc
	s_waitcnt vmcnt(0)
	flat_load_dword v6, v[3:4] glc
	s_waitcnt vmcnt(0)
	v_add_u32_e32 v3, 64, v1
	s_waitcnt lgkmcnt(0)
	v_min_i32_e32 v5, v5, v6
	flat_store_dword v[1:2], v5
	s_waitcnt vmcnt(0)
	flat_load_dword v5, v[1:2] glc
	s_waitcnt vmcnt(0)
	flat_load_dword v6, v[3:4] glc
	s_waitcnt vmcnt(0)
	v_add_u32_e32 v3, 32, v1
	s_waitcnt lgkmcnt(0)
	v_min_i32_e32 v5, v5, v6
	flat_store_dword v[1:2], v5
	s_waitcnt vmcnt(0)
	;; [unrolled: 9-line block ×5, first 2 shown]
	flat_load_dword v5, v[1:2] glc
	s_waitcnt vmcnt(0)
	flat_load_dword v6, v[3:4] glc
	s_waitcnt vmcnt(0) lgkmcnt(0)
	v_min_i32_e32 v3, v5, v6
	flat_store_dword v[1:2], v3
	s_waitcnt vmcnt(0)
.LBB14_18:
	s_or_b64 exec, exec, s[0:1]
	s_mov_b32 s7, 0
	v_cmp_eq_u32_e32 vcc, 0, v0
	s_and_saveexec_b64 s[0:1], vcc
	s_cbranch_execz .LBB14_20
; %bb.19:
	v_mov_b32_e32 v0, 0
	s_lshl_b64 s[0:1], s[6:7], 2
	ds_read_b32 v2, v0
	s_getpc_b64 s[2:3]
	s_add_u32 s2, s2, d_min_in_mat_vect@rel32@lo+4
	s_addc_u32 s3, s3, d_min_in_mat_vect@rel32@hi+12
	s_add_u32 s0, s2, s0
	s_addc_u32 s1, s3, s1
	v_mov_b32_e32 v0, s0
	v_mov_b32_e32 v1, s1
	s_waitcnt lgkmcnt(0)
	flat_store_dword v[0:1], v2
	s_waitcnt vmcnt(0)
.LBB14_20:
	s_endpgm
	.section	.rodata,"a",@progbits
	.p2align	6, 0x0
	.amdhsa_kernel _Z18min_reduce_kernel1v
		.amdhsa_group_segment_fixed_size 0
		.amdhsa_private_segment_fixed_size 0
		.amdhsa_kernarg_size 256
		.amdhsa_user_sgpr_count 6
		.amdhsa_user_sgpr_private_segment_buffer 1
		.amdhsa_user_sgpr_dispatch_ptr 0
		.amdhsa_user_sgpr_queue_ptr 0
		.amdhsa_user_sgpr_kernarg_segment_ptr 1
		.amdhsa_user_sgpr_dispatch_id 0
		.amdhsa_user_sgpr_flat_scratch_init 0
		.amdhsa_user_sgpr_private_segment_size 0
		.amdhsa_uses_dynamic_stack 0
		.amdhsa_system_sgpr_private_segment_wavefront_offset 0
		.amdhsa_system_sgpr_workgroup_id_x 1
		.amdhsa_system_sgpr_workgroup_id_y 0
		.amdhsa_system_sgpr_workgroup_id_z 0
		.amdhsa_system_sgpr_workgroup_info 0
		.amdhsa_system_vgpr_workitem_id 0
		.amdhsa_next_free_vgpr 9
		.amdhsa_next_free_sgpr 16
		.amdhsa_reserve_vcc 1
		.amdhsa_reserve_flat_scratch 0
		.amdhsa_float_round_mode_32 0
		.amdhsa_float_round_mode_16_64 0
		.amdhsa_float_denorm_mode_32 3
		.amdhsa_float_denorm_mode_16_64 3
		.amdhsa_dx10_clamp 1
		.amdhsa_ieee_mode 1
		.amdhsa_fp16_overflow 0
		.amdhsa_exception_fp_ieee_invalid_op 0
		.amdhsa_exception_fp_denorm_src 0
		.amdhsa_exception_fp_ieee_div_zero 0
		.amdhsa_exception_fp_ieee_overflow 0
		.amdhsa_exception_fp_ieee_underflow 0
		.amdhsa_exception_fp_ieee_inexact 0
		.amdhsa_exception_int_div_zero 0
	.end_amdhsa_kernel
	.text
.Lfunc_end14:
	.size	_Z18min_reduce_kernel1v, .Lfunc_end14-_Z18min_reduce_kernel1v
                                        ; -- End function
	.set _Z18min_reduce_kernel1v.num_vgpr, 9
	.set _Z18min_reduce_kernel1v.num_agpr, 0
	.set _Z18min_reduce_kernel1v.numbered_sgpr, 16
	.set _Z18min_reduce_kernel1v.num_named_barrier, 0
	.set _Z18min_reduce_kernel1v.private_seg_size, 0
	.set _Z18min_reduce_kernel1v.uses_vcc, 1
	.set _Z18min_reduce_kernel1v.uses_flat_scratch, 0
	.set _Z18min_reduce_kernel1v.has_dyn_sized_stack, 0
	.set _Z18min_reduce_kernel1v.has_recursion, 0
	.set _Z18min_reduce_kernel1v.has_indirect_call, 0
	.section	.AMDGPU.csdata,"",@progbits
; Kernel info:
; codeLenInByte = 988
; TotalNumSgprs: 20
; NumVgprs: 9
; ScratchSize: 0
; MemoryBound: 0
; FloatMode: 240
; IeeeMode: 1
; LDSByteSize: 0 bytes/workgroup (compile time only)
; SGPRBlocks: 2
; VGPRBlocks: 2
; NumSGPRsForWavesPerEU: 20
; NumVGPRsForWavesPerEU: 9
; Occupancy: 10
; WaveLimiterHint : 0
; COMPUTE_PGM_RSRC2:SCRATCH_EN: 0
; COMPUTE_PGM_RSRC2:USER_SGPR: 6
; COMPUTE_PGM_RSRC2:TRAP_HANDLER: 0
; COMPUTE_PGM_RSRC2:TGID_X_EN: 1
; COMPUTE_PGM_RSRC2:TGID_Y_EN: 0
; COMPUTE_PGM_RSRC2:TGID_Z_EN: 0
; COMPUTE_PGM_RSRC2:TIDIG_COMP_CNT: 0
	.text
	.protected	_Z18min_reduce_kernel2v ; -- Begin function _Z18min_reduce_kernel2v
	.globl	_Z18min_reduce_kernel2v
	.p2align	8
	.type	_Z18min_reduce_kernel2v,@function
_Z18min_reduce_kernel2v:                ; @_Z18min_reduce_kernel2v
; %bb.0:
	v_lshl_add_u32 v1, s4, 8, v0
	v_mov_b32_e32 v2, 0
	v_lshlrev_b64 v[3:4], 2, v[1:2]
	s_getpc_b64 s[0:1]
	s_add_u32 s0, s0, d_min_in_mat_vect@rel32@lo+4
	s_addc_u32 s1, s1, d_min_in_mat_vect@rel32@hi+12
	v_add_u32_e32 v1, 0x80, v1
	v_mov_b32_e32 v5, s1
	v_add_co_u32_e32 v3, vcc, s0, v3
	v_lshlrev_b64 v[1:2], 2, v[1:2]
	v_addc_co_u32_e32 v4, vcc, v5, v4, vcc
	v_add_co_u32_e32 v1, vcc, s0, v1
	v_addc_co_u32_e32 v2, vcc, v5, v2, vcc
	flat_load_dword v3, v[3:4] glc
	s_waitcnt vmcnt(0)
	v_cmp_gt_u32_e32 vcc, 64, v0
	flat_load_dword v2, v[1:2] glc
	s_waitcnt vmcnt(0)
	v_lshl_add_u32 v1, v0, 2, 0
	s_waitcnt lgkmcnt(0)
	v_min_i32_e32 v2, v3, v2
	ds_write_b32 v1, v2
	s_waitcnt lgkmcnt(0)
	s_barrier
	s_and_saveexec_b64 s[0:1], vcc
	s_cbranch_execz .LBB15_2
; %bb.1:
	ds_read2st64_b32 v[2:3], v1 offset1:1
	s_waitcnt lgkmcnt(0)
	v_min_i32_e32 v2, v2, v3
	ds_write_b32 v1, v2
.LBB15_2:
	s_or_b64 exec, exec, s[0:1]
	v_cmp_gt_u32_e32 vcc, 32, v0
	s_waitcnt lgkmcnt(0)
	s_barrier
	s_and_saveexec_b64 s[0:1], vcc
	s_cbranch_execz .LBB15_4
; %bb.3:
	s_mov_b64 s[2:3], src_shared_base
	v_mov_b32_e32 v2, s3
	v_add_u32_e32 v3, 0x80, v1
	v_mov_b32_e32 v4, s3
	flat_load_dword v5, v[1:2] glc
	s_waitcnt vmcnt(0)
	flat_load_dword v6, v[3:4] glc
	s_waitcnt vmcnt(0)
	v_add_u32_e32 v3, 64, v1
	s_waitcnt lgkmcnt(0)
	v_min_i32_e32 v5, v5, v6
	flat_store_dword v[1:2], v5
	s_waitcnt vmcnt(0)
	flat_load_dword v5, v[1:2] glc
	s_waitcnt vmcnt(0)
	flat_load_dword v6, v[3:4] glc
	s_waitcnt vmcnt(0)
	v_add_u32_e32 v3, 32, v1
	s_waitcnt lgkmcnt(0)
	v_min_i32_e32 v5, v5, v6
	flat_store_dword v[1:2], v5
	s_waitcnt vmcnt(0)
	;; [unrolled: 9-line block ×5, first 2 shown]
	flat_load_dword v5, v[1:2] glc
	s_waitcnt vmcnt(0)
	flat_load_dword v6, v[3:4] glc
	s_waitcnt vmcnt(0) lgkmcnt(0)
	v_min_i32_e32 v3, v5, v6
	flat_store_dword v[1:2], v3
	s_waitcnt vmcnt(0)
.LBB15_4:
	s_or_b64 exec, exec, s[0:1]
	s_mov_b32 s5, 0
	v_cmp_eq_u32_e32 vcc, 0, v0
	s_and_saveexec_b64 s[0:1], vcc
	s_cbranch_execz .LBB15_6
; %bb.5:
	v_mov_b32_e32 v0, 0
	s_lshl_b64 s[0:1], s[4:5], 2
	ds_read_b32 v2, v0
	s_getpc_b64 s[2:3]
	s_add_u32 s2, s2, d_min_in_mat@rel32@lo+4
	s_addc_u32 s3, s3, d_min_in_mat@rel32@hi+12
	s_add_u32 s0, s2, s0
	s_addc_u32 s1, s3, s1
	v_mov_b32_e32 v0, s0
	v_mov_b32_e32 v1, s1
	s_waitcnt lgkmcnt(0)
	flat_store_dword v[0:1], v2
	s_waitcnt vmcnt(0)
.LBB15_6:
	s_endpgm
	.section	.rodata,"a",@progbits
	.p2align	6, 0x0
	.amdhsa_kernel _Z18min_reduce_kernel2v
		.amdhsa_group_segment_fixed_size 0
		.amdhsa_private_segment_fixed_size 0
		.amdhsa_kernarg_size 0
		.amdhsa_user_sgpr_count 4
		.amdhsa_user_sgpr_private_segment_buffer 1
		.amdhsa_user_sgpr_dispatch_ptr 0
		.amdhsa_user_sgpr_queue_ptr 0
		.amdhsa_user_sgpr_kernarg_segment_ptr 0
		.amdhsa_user_sgpr_dispatch_id 0
		.amdhsa_user_sgpr_flat_scratch_init 0
		.amdhsa_user_sgpr_private_segment_size 0
		.amdhsa_uses_dynamic_stack 0
		.amdhsa_system_sgpr_private_segment_wavefront_offset 0
		.amdhsa_system_sgpr_workgroup_id_x 1
		.amdhsa_system_sgpr_workgroup_id_y 0
		.amdhsa_system_sgpr_workgroup_id_z 0
		.amdhsa_system_sgpr_workgroup_info 0
		.amdhsa_system_vgpr_workitem_id 0
		.amdhsa_next_free_vgpr 7
		.amdhsa_next_free_sgpr 6
		.amdhsa_reserve_vcc 1
		.amdhsa_reserve_flat_scratch 0
		.amdhsa_float_round_mode_32 0
		.amdhsa_float_round_mode_16_64 0
		.amdhsa_float_denorm_mode_32 3
		.amdhsa_float_denorm_mode_16_64 3
		.amdhsa_dx10_clamp 1
		.amdhsa_ieee_mode 1
		.amdhsa_fp16_overflow 0
		.amdhsa_exception_fp_ieee_invalid_op 0
		.amdhsa_exception_fp_denorm_src 0
		.amdhsa_exception_fp_ieee_div_zero 0
		.amdhsa_exception_fp_ieee_overflow 0
		.amdhsa_exception_fp_ieee_underflow 0
		.amdhsa_exception_fp_ieee_inexact 0
		.amdhsa_exception_int_div_zero 0
	.end_amdhsa_kernel
	.text
.Lfunc_end15:
	.size	_Z18min_reduce_kernel2v, .Lfunc_end15-_Z18min_reduce_kernel2v
                                        ; -- End function
	.set _Z18min_reduce_kernel2v.num_vgpr, 7
	.set _Z18min_reduce_kernel2v.num_agpr, 0
	.set _Z18min_reduce_kernel2v.numbered_sgpr, 6
	.set _Z18min_reduce_kernel2v.num_named_barrier, 0
	.set _Z18min_reduce_kernel2v.private_seg_size, 0
	.set _Z18min_reduce_kernel2v.uses_vcc, 1
	.set _Z18min_reduce_kernel2v.uses_flat_scratch, 0
	.set _Z18min_reduce_kernel2v.has_dyn_sized_stack, 0
	.set _Z18min_reduce_kernel2v.has_recursion, 0
	.set _Z18min_reduce_kernel2v.has_indirect_call, 0
	.section	.AMDGPU.csdata,"",@progbits
; Kernel info:
; codeLenInByte = 584
; TotalNumSgprs: 10
; NumVgprs: 7
; ScratchSize: 0
; MemoryBound: 0
; FloatMode: 240
; IeeeMode: 1
; LDSByteSize: 0 bytes/workgroup (compile time only)
; SGPRBlocks: 1
; VGPRBlocks: 1
; NumSGPRsForWavesPerEU: 10
; NumVGPRsForWavesPerEU: 7
; Occupancy: 10
; WaveLimiterHint : 0
; COMPUTE_PGM_RSRC2:SCRATCH_EN: 0
; COMPUTE_PGM_RSRC2:USER_SGPR: 4
; COMPUTE_PGM_RSRC2:TRAP_HANDLER: 0
; COMPUTE_PGM_RSRC2:TGID_X_EN: 1
; COMPUTE_PGM_RSRC2:TGID_Y_EN: 0
; COMPUTE_PGM_RSRC2:TGID_Z_EN: 0
; COMPUTE_PGM_RSRC2:TIDIG_COMP_CNT: 0
	.section	.AMDGPU.gpr_maximums,"",@progbits
	.set amdgpu.max_num_vgpr, 0
	.set amdgpu.max_num_agpr, 0
	.set amdgpu.max_num_sgpr, 0
	.section	.AMDGPU.csdata,"",@progbits
	.protected	slack                   ; @slack
	.type	slack,@object
	.section	.bss,"aw",@nobits
	.globl	slack
	.p2align	4, 0x0
slack:
	.zero	4194304
	.size	slack, 4194304

	.protected	min_in_rows             ; @min_in_rows
	.type	min_in_rows,@object
	.globl	min_in_rows
	.p2align	4, 0x0
min_in_rows:
	.zero	4096
	.size	min_in_rows, 4096

	.protected	min_in_cols             ; @min_in_cols
	.type	min_in_cols,@object
	.globl	min_in_cols
	.p2align	4, 0x0
min_in_cols:
	.zero	4096
	.size	min_in_cols, 4096

	.protected	zeros                   ; @zeros
	.type	zeros,@object
	.globl	zeros
	.p2align	4, 0x0
zeros:
	.zero	4194304
	.size	zeros, 4194304

	.protected	zeros_size_b            ; @zeros_size_b
	.type	zeros_size_b,@object
	.globl	zeros_size_b
	.p2align	2, 0x0
zeros_size_b:
	.zero	8
	.size	zeros_size_b, 8

	.protected	row_of_star_at_column   ; @row_of_star_at_column
	.type	row_of_star_at_column,@object
	.globl	row_of_star_at_column
	.p2align	4, 0x0
row_of_star_at_column:
	.zero	4096
	.size	row_of_star_at_column, 4096

	.protected	column_of_star_at_row   ; @column_of_star_at_row
	.type	column_of_star_at_row,@object
	.globl	column_of_star_at_row
	.p2align	4, 0x0
column_of_star_at_row:
	.zero	4096
	.size	column_of_star_at_row, 4096

	.protected	cover_row               ; @cover_row
	.type	cover_row,@object
	.globl	cover_row
	.p2align	4, 0x0
cover_row:
	.zero	4096
	.size	cover_row, 4096

	.protected	cover_column            ; @cover_column
	.type	cover_column,@object
	.globl	cover_column
	.p2align	4, 0x0
cover_column:
	.zero	4096
	.size	cover_column, 4096

	.protected	column_of_prime_at_row  ; @column_of_prime_at_row
	.type	column_of_prime_at_row,@object
	.globl	column_of_prime_at_row
	.p2align	4, 0x0
column_of_prime_at_row:
	.zero	4096
	.size	column_of_prime_at_row, 4096

	.protected	row_of_green_at_column  ; @row_of_green_at_column
	.type	row_of_green_at_column,@object
	.globl	row_of_green_at_column
	.p2align	4, 0x0
row_of_green_at_column:
	.zero	4096
	.size	row_of_green_at_column, 4096

	.protected	max_in_mat_row          ; @max_in_mat_row
	.type	max_in_mat_row,@object
	.globl	max_in_mat_row
	.p2align	4, 0x0
max_in_mat_row:
	.zero	4096
	.size	max_in_mat_row, 4096

	.protected	min_in_mat_col          ; @min_in_mat_col
	.type	min_in_mat_col,@object
	.globl	min_in_mat_col
	.p2align	4, 0x0
min_in_mat_col:
	.zero	4096
	.size	min_in_mat_col, 4096

	.protected	d_min_in_mat_vect       ; @d_min_in_mat_vect
	.type	d_min_in_mat_vect,@object
	.globl	d_min_in_mat_vect
	.p2align	4, 0x0
d_min_in_mat_vect:
	.zero	1024
	.size	d_min_in_mat_vect, 1024

	.protected	d_min_in_mat            ; @d_min_in_mat
	.type	d_min_in_mat,@object
	.globl	d_min_in_mat
	.p2align	2, 0x0
d_min_in_mat:
	.long	0                               ; 0x0
	.size	d_min_in_mat, 4

	.protected	zeros_size.managed      ; @zeros_size.managed
	.type	zeros_size.managed,@object
	.globl	zeros_size.managed
	.p2align	2, 0x0
zeros_size.managed:
	.long	0                               ; 0x0
	.size	zeros_size.managed, 4

	.protected	n_matches.managed       ; @n_matches.managed
	.type	n_matches.managed,@object
	.globl	n_matches.managed
	.p2align	2, 0x0
n_matches.managed:
	.long	0                               ; 0x0
	.size	n_matches.managed, 4

	.protected	goto_5.managed          ; @goto_5.managed
	.type	goto_5.managed,@object
	.globl	goto_5.managed
goto_5.managed:
	.byte	0                               ; 0x0
	.size	goto_5.managed, 1

	.protected	repeat_kernel.managed   ; @repeat_kernel.managed
	.type	repeat_kernel.managed,@object
	.globl	repeat_kernel.managed
repeat_kernel.managed:
	.byte	0                               ; 0x0
	.size	repeat_kernel.managed, 1

	.protected	zeros_size              ; @zeros_size
	.type	zeros_size,@object
	.globl	zeros_size
	.p2align	3, 0x0
zeros_size:
	.quad	0
	.size	zeros_size, 8

	.protected	n_matches               ; @n_matches
	.type	n_matches,@object
	.globl	n_matches
	.p2align	3, 0x0
n_matches:
	.quad	0
	.size	n_matches, 8

	.protected	goto_5                  ; @goto_5
	.type	goto_5,@object
	.globl	goto_5
	.p2align	3, 0x0
goto_5:
	.quad	0
	.size	goto_5, 8

	.protected	repeat_kernel           ; @repeat_kernel
	.type	repeat_kernel,@object
	.globl	repeat_kernel
	.p2align	3, 0x0
repeat_kernel:
	.quad	0
	.size	repeat_kernel, 8

	.type	__hip_cuid_13b3a75f2d83b7e,@object ; @__hip_cuid_13b3a75f2d83b7e
	.globl	__hip_cuid_13b3a75f2d83b7e
__hip_cuid_13b3a75f2d83b7e:
	.byte	0                               ; 0x0
	.size	__hip_cuid_13b3a75f2d83b7e, 1

	.ident	"AMD clang version 22.0.0git (https://github.com/RadeonOpenCompute/llvm-project roc-7.2.4 26084 f58b06dce1f9c15707c5f808fd002e18c2accf7e)"
	.section	".note.GNU-stack","",@progbits
	.addrsig
	.addrsig_sym slack
	.addrsig_sym min_in_rows
	.addrsig_sym min_in_cols
	.addrsig_sym zeros
	.addrsig_sym zeros_size_b
	.addrsig_sym row_of_star_at_column
	.addrsig_sym column_of_star_at_row
	.addrsig_sym cover_row
	.addrsig_sym cover_column
	.addrsig_sym column_of_prime_at_row
	.addrsig_sym row_of_green_at_column
	.addrsig_sym d_min_in_mat_vect
	.addrsig_sym d_min_in_mat
	.addrsig_sym zeros_size.managed
	.addrsig_sym n_matches.managed
	.addrsig_sym goto_5.managed
	.addrsig_sym repeat_kernel.managed
	.addrsig_sym sdata
	.addrsig_sym zeros_size
	.addrsig_sym n_matches
	.addrsig_sym goto_5
	.addrsig_sym repeat_kernel
	.addrsig_sym __hip_cuid_13b3a75f2d83b7e
	.amdgpu_metadata
---
amdhsa.kernels:
  - .args:
      - .offset:         0
        .size:           4
        .value_kind:     hidden_block_count_x
      - .offset:         4
        .size:           4
        .value_kind:     hidden_block_count_y
      - .offset:         8
        .size:           4
        .value_kind:     hidden_block_count_z
      - .offset:         12
        .size:           2
        .value_kind:     hidden_group_size_x
      - .offset:         14
        .size:           2
        .value_kind:     hidden_group_size_y
      - .offset:         16
        .size:           2
        .value_kind:     hidden_group_size_z
      - .offset:         18
        .size:           2
        .value_kind:     hidden_remainder_x
      - .offset:         20
        .size:           2
        .value_kind:     hidden_remainder_y
      - .offset:         22
        .size:           2
        .value_kind:     hidden_remainder_z
      - .offset:         40
        .size:           8
        .value_kind:     hidden_global_offset_x
      - .offset:         48
        .size:           8
        .value_kind:     hidden_global_offset_y
      - .offset:         56
        .size:           8
        .value_kind:     hidden_global_offset_z
      - .offset:         64
        .size:           2
        .value_kind:     hidden_grid_dims
    .group_segment_fixed_size: 0
    .kernarg_segment_align: 8
    .kernarg_segment_size: 256
    .language:       OpenCL C
    .language_version:
      - 2
      - 0
    .max_flat_workgroup_size: 1024
    .name:           _Z4initv
    .private_segment_fixed_size: 0
    .sgpr_count:     11
    .sgpr_spill_count: 0
    .symbol:         _Z4initv.kd
    .uniform_work_group_size: 1
    .uses_dynamic_stack: false
    .vgpr_count:     9
    .vgpr_spill_count: 0
    .wavefront_size: 64
  - .args:           []
    .group_segment_fixed_size: 1024
    .kernarg_segment_align: 4
    .kernarg_segment_size: 0
    .language:       OpenCL C
    .language_version:
      - 2
      - 0
    .max_flat_workgroup_size: 1024
    .name:           _Z16calc_min_in_rowsv
    .private_segment_fixed_size: 0
    .sgpr_count:     10
    .sgpr_spill_count: 0
    .symbol:         _Z16calc_min_in_rowsv.kd
    .uniform_work_group_size: 1
    .uses_dynamic_stack: false
    .vgpr_count:     7
    .vgpr_spill_count: 0
    .wavefront_size: 64
  - .args:           []
    .group_segment_fixed_size: 1024
    .kernarg_segment_align: 4
    .kernarg_segment_size: 0
    .language:       OpenCL C
    .language_version:
      - 2
      - 0
    .max_flat_workgroup_size: 1024
    .name:           _Z16calc_min_in_colsv
    .private_segment_fixed_size: 0
    .sgpr_count:     10
    .sgpr_spill_count: 0
    .symbol:         _Z16calc_min_in_colsv.kd
    .uniform_work_group_size: 1
    .uses_dynamic_stack: false
    .vgpr_count:     8
    .vgpr_spill_count: 0
    .wavefront_size: 64
  - .args:
      - .offset:         0
        .size:           4
        .value_kind:     hidden_block_count_x
      - .offset:         4
        .size:           4
        .value_kind:     hidden_block_count_y
      - .offset:         8
        .size:           4
        .value_kind:     hidden_block_count_z
      - .offset:         12
        .size:           2
        .value_kind:     hidden_group_size_x
      - .offset:         14
        .size:           2
        .value_kind:     hidden_group_size_y
      - .offset:         16
        .size:           2
        .value_kind:     hidden_group_size_z
      - .offset:         18
        .size:           2
        .value_kind:     hidden_remainder_x
      - .offset:         20
        .size:           2
        .value_kind:     hidden_remainder_y
      - .offset:         22
        .size:           2
        .value_kind:     hidden_remainder_z
      - .offset:         40
        .size:           8
        .value_kind:     hidden_global_offset_x
      - .offset:         48
        .size:           8
        .value_kind:     hidden_global_offset_y
      - .offset:         56
        .size:           8
        .value_kind:     hidden_global_offset_z
      - .offset:         64
        .size:           2
        .value_kind:     hidden_grid_dims
    .group_segment_fixed_size: 0
    .kernarg_segment_align: 8
    .kernarg_segment_size: 256
    .language:       OpenCL C
    .language_version:
      - 2
      - 0
    .max_flat_workgroup_size: 1024
    .name:           _Z14step_1_row_subv
    .private_segment_fixed_size: 0
    .sgpr_count:     11
    .sgpr_spill_count: 0
    .symbol:         _Z14step_1_row_subv.kd
    .uniform_work_group_size: 1
    .uses_dynamic_stack: false
    .vgpr_count:     4
    .vgpr_spill_count: 0
    .wavefront_size: 64
  - .args:
      - .offset:         0
        .size:           4
        .value_kind:     hidden_block_count_x
      - .offset:         4
        .size:           4
        .value_kind:     hidden_block_count_y
      - .offset:         8
        .size:           4
        .value_kind:     hidden_block_count_z
      - .offset:         12
        .size:           2
        .value_kind:     hidden_group_size_x
      - .offset:         14
        .size:           2
        .value_kind:     hidden_group_size_y
      - .offset:         16
        .size:           2
        .value_kind:     hidden_group_size_z
      - .offset:         18
        .size:           2
        .value_kind:     hidden_remainder_x
      - .offset:         20
        .size:           2
        .value_kind:     hidden_remainder_y
      - .offset:         22
        .size:           2
        .value_kind:     hidden_remainder_z
      - .offset:         40
        .size:           8
        .value_kind:     hidden_global_offset_x
      - .offset:         48
        .size:           8
        .value_kind:     hidden_global_offset_y
      - .offset:         56
        .size:           8
        .value_kind:     hidden_global_offset_z
      - .offset:         64
        .size:           2
        .value_kind:     hidden_grid_dims
    .group_segment_fixed_size: 0
    .kernarg_segment_align: 8
    .kernarg_segment_size: 256
    .language:       OpenCL C
    .language_version:
      - 2
      - 0
    .max_flat_workgroup_size: 1024
    .name:           _Z14step_1_col_subv
    .private_segment_fixed_size: 0
    .sgpr_count:     11
    .sgpr_spill_count: 0
    .symbol:         _Z14step_1_col_subv.kd
    .uniform_work_group_size: 1
    .uses_dynamic_stack: false
    .vgpr_count:     9
    .vgpr_spill_count: 0
    .wavefront_size: 64
  - .args:
      - .offset:         0
        .size:           4
        .value_kind:     hidden_block_count_x
      - .offset:         4
        .size:           4
        .value_kind:     hidden_block_count_y
      - .offset:         8
        .size:           4
        .value_kind:     hidden_block_count_z
      - .offset:         12
        .size:           2
        .value_kind:     hidden_group_size_x
      - .offset:         14
        .size:           2
        .value_kind:     hidden_group_size_y
      - .offset:         16
        .size:           2
        .value_kind:     hidden_group_size_z
      - .offset:         18
        .size:           2
        .value_kind:     hidden_remainder_x
      - .offset:         20
        .size:           2
        .value_kind:     hidden_remainder_y
      - .offset:         22
        .size:           2
        .value_kind:     hidden_remainder_z
      - .offset:         40
        .size:           8
        .value_kind:     hidden_global_offset_x
      - .offset:         48
        .size:           8
        .value_kind:     hidden_global_offset_y
      - .offset:         56
        .size:           8
        .value_kind:     hidden_global_offset_z
      - .offset:         64
        .size:           2
        .value_kind:     hidden_grid_dims
    .group_segment_fixed_size: 0
    .kernarg_segment_align: 8
    .kernarg_segment_size: 256
    .language:       OpenCL C
    .language_version:
      - 2
      - 0
    .max_flat_workgroup_size: 1024
    .name:           _Z15compress_matrixv
    .private_segment_fixed_size: 0
    .sgpr_count:     11
    .sgpr_spill_count: 0
    .symbol:         _Z15compress_matrixv.kd
    .uniform_work_group_size: 1
    .uses_dynamic_stack: false
    .vgpr_count:     4
    .vgpr_spill_count: 0
    .wavefront_size: 64
  - .args:
      - .offset:         0
        .size:           4
        .value_kind:     hidden_block_count_x
      - .offset:         4
        .size:           4
        .value_kind:     hidden_block_count_y
      - .offset:         8
        .size:           4
        .value_kind:     hidden_block_count_z
      - .offset:         12
        .size:           2
        .value_kind:     hidden_group_size_x
      - .offset:         14
        .size:           2
        .value_kind:     hidden_group_size_y
      - .offset:         16
        .size:           2
        .value_kind:     hidden_group_size_z
      - .offset:         18
        .size:           2
        .value_kind:     hidden_remainder_x
      - .offset:         20
        .size:           2
        .value_kind:     hidden_remainder_y
      - .offset:         22
        .size:           2
        .value_kind:     hidden_remainder_z
      - .offset:         40
        .size:           8
        .value_kind:     hidden_global_offset_x
      - .offset:         48
        .size:           8
        .value_kind:     hidden_global_offset_y
      - .offset:         56
        .size:           8
        .value_kind:     hidden_global_offset_z
      - .offset:         64
        .size:           2
        .value_kind:     hidden_grid_dims
    .group_segment_fixed_size: 2
    .kernarg_segment_align: 8
    .kernarg_segment_size: 256
    .language:       OpenCL C
    .language_version:
      - 2
      - 0
    .max_flat_workgroup_size: 1024
    .name:           _Z6step_2v
    .private_segment_fixed_size: 0
    .sgpr_count:     22
    .sgpr_spill_count: 0
    .symbol:         _Z6step_2v.kd
    .uniform_work_group_size: 1
    .uses_dynamic_stack: false
    .vgpr_count:     16
    .vgpr_spill_count: 0
    .wavefront_size: 64
  - .args:
      - .offset:         0
        .size:           4
        .value_kind:     hidden_block_count_x
      - .offset:         4
        .size:           4
        .value_kind:     hidden_block_count_y
      - .offset:         8
        .size:           4
        .value_kind:     hidden_block_count_z
      - .offset:         12
        .size:           2
        .value_kind:     hidden_group_size_x
      - .offset:         14
        .size:           2
        .value_kind:     hidden_group_size_y
      - .offset:         16
        .size:           2
        .value_kind:     hidden_group_size_z
      - .offset:         18
        .size:           2
        .value_kind:     hidden_remainder_x
      - .offset:         20
        .size:           2
        .value_kind:     hidden_remainder_y
      - .offset:         22
        .size:           2
        .value_kind:     hidden_remainder_z
      - .offset:         40
        .size:           8
        .value_kind:     hidden_global_offset_x
      - .offset:         48
        .size:           8
        .value_kind:     hidden_global_offset_y
      - .offset:         56
        .size:           8
        .value_kind:     hidden_global_offset_z
      - .offset:         64
        .size:           2
        .value_kind:     hidden_grid_dims
    .group_segment_fixed_size: 0
    .kernarg_segment_align: 8
    .kernarg_segment_size: 256
    .language:       OpenCL C
    .language_version:
      - 2
      - 0
    .max_flat_workgroup_size: 1024
    .name:           _Z9step_3iniv
    .private_segment_fixed_size: 0
    .sgpr_count:     11
    .sgpr_spill_count: 0
    .symbol:         _Z9step_3iniv.kd
    .uniform_work_group_size: 1
    .uses_dynamic_stack: false
    .vgpr_count:     6
    .vgpr_spill_count: 0
    .wavefront_size: 64
  - .args:
      - .offset:         0
        .size:           4
        .value_kind:     hidden_block_count_x
      - .offset:         4
        .size:           4
        .value_kind:     hidden_block_count_y
      - .offset:         8
        .size:           4
        .value_kind:     hidden_block_count_z
      - .offset:         12
        .size:           2
        .value_kind:     hidden_group_size_x
      - .offset:         14
        .size:           2
        .value_kind:     hidden_group_size_y
      - .offset:         16
        .size:           2
        .value_kind:     hidden_group_size_z
      - .offset:         18
        .size:           2
        .value_kind:     hidden_remainder_x
      - .offset:         20
        .size:           2
        .value_kind:     hidden_remainder_y
      - .offset:         22
        .size:           2
        .value_kind:     hidden_remainder_z
      - .offset:         40
        .size:           8
        .value_kind:     hidden_global_offset_x
      - .offset:         48
        .size:           8
        .value_kind:     hidden_global_offset_y
      - .offset:         56
        .size:           8
        .value_kind:     hidden_global_offset_z
      - .offset:         64
        .size:           2
        .value_kind:     hidden_grid_dims
    .group_segment_fixed_size: 0
    .kernarg_segment_align: 8
    .kernarg_segment_size: 256
    .language:       OpenCL C
    .language_version:
      - 2
      - 0
    .max_flat_workgroup_size: 1024
    .name:           _Z6step_3v
    .private_segment_fixed_size: 0
    .sgpr_count:     11
    .sgpr_spill_count: 0
    .symbol:         _Z6step_3v.kd
    .uniform_work_group_size: 1
    .uses_dynamic_stack: false
    .vgpr_count:     4
    .vgpr_spill_count: 0
    .wavefront_size: 64
  - .args:
      - .offset:         0
        .size:           4
        .value_kind:     hidden_block_count_x
      - .offset:         4
        .size:           4
        .value_kind:     hidden_block_count_y
      - .offset:         8
        .size:           4
        .value_kind:     hidden_block_count_z
      - .offset:         12
        .size:           2
        .value_kind:     hidden_group_size_x
      - .offset:         14
        .size:           2
        .value_kind:     hidden_group_size_y
      - .offset:         16
        .size:           2
        .value_kind:     hidden_group_size_z
      - .offset:         18
        .size:           2
        .value_kind:     hidden_remainder_x
      - .offset:         20
        .size:           2
        .value_kind:     hidden_remainder_y
      - .offset:         22
        .size:           2
        .value_kind:     hidden_remainder_z
      - .offset:         40
        .size:           8
        .value_kind:     hidden_global_offset_x
      - .offset:         48
        .size:           8
        .value_kind:     hidden_global_offset_y
      - .offset:         56
        .size:           8
        .value_kind:     hidden_global_offset_z
      - .offset:         64
        .size:           2
        .value_kind:     hidden_grid_dims
    .group_segment_fixed_size: 0
    .kernarg_segment_align: 8
    .kernarg_segment_size: 256
    .language:       OpenCL C
    .language_version:
      - 2
      - 0
    .max_flat_workgroup_size: 1024
    .name:           _Z11step_4_initv
    .private_segment_fixed_size: 0
    .sgpr_count:     11
    .sgpr_spill_count: 0
    .symbol:         _Z11step_4_initv.kd
    .uniform_work_group_size: 1
    .uses_dynamic_stack: false
    .vgpr_count:     5
    .vgpr_spill_count: 0
    .wavefront_size: 64
  - .args:
      - .offset:         0
        .size:           4
        .value_kind:     hidden_block_count_x
      - .offset:         4
        .size:           4
        .value_kind:     hidden_block_count_y
      - .offset:         8
        .size:           4
        .value_kind:     hidden_block_count_z
      - .offset:         12
        .size:           2
        .value_kind:     hidden_group_size_x
      - .offset:         14
        .size:           2
        .value_kind:     hidden_group_size_y
      - .offset:         16
        .size:           2
        .value_kind:     hidden_group_size_z
      - .offset:         18
        .size:           2
        .value_kind:     hidden_remainder_x
      - .offset:         20
        .size:           2
        .value_kind:     hidden_remainder_y
      - .offset:         22
        .size:           2
        .value_kind:     hidden_remainder_z
      - .offset:         40
        .size:           8
        .value_kind:     hidden_global_offset_x
      - .offset:         48
        .size:           8
        .value_kind:     hidden_global_offset_y
      - .offset:         56
        .size:           8
        .value_kind:     hidden_global_offset_z
      - .offset:         64
        .size:           2
        .value_kind:     hidden_grid_dims
    .group_segment_fixed_size: 3
    .kernarg_segment_align: 8
    .kernarg_segment_size: 256
    .language:       OpenCL C
    .language_version:
      - 2
      - 0
    .max_flat_workgroup_size: 1024
    .name:           _Z6step_4v
    .private_segment_fixed_size: 0
    .sgpr_count:     22
    .sgpr_spill_count: 0
    .symbol:         _Z6step_4v.kd
    .uniform_work_group_size: 1
    .uses_dynamic_stack: false
    .vgpr_count:     16
    .vgpr_spill_count: 0
    .wavefront_size: 64
  - .args:
      - .offset:         0
        .size:           4
        .value_kind:     hidden_block_count_x
      - .offset:         4
        .size:           4
        .value_kind:     hidden_block_count_y
      - .offset:         8
        .size:           4
        .value_kind:     hidden_block_count_z
      - .offset:         12
        .size:           2
        .value_kind:     hidden_group_size_x
      - .offset:         14
        .size:           2
        .value_kind:     hidden_group_size_y
      - .offset:         16
        .size:           2
        .value_kind:     hidden_group_size_z
      - .offset:         18
        .size:           2
        .value_kind:     hidden_remainder_x
      - .offset:         20
        .size:           2
        .value_kind:     hidden_remainder_y
      - .offset:         22
        .size:           2
        .value_kind:     hidden_remainder_z
      - .offset:         40
        .size:           8
        .value_kind:     hidden_global_offset_x
      - .offset:         48
        .size:           8
        .value_kind:     hidden_global_offset_y
      - .offset:         56
        .size:           8
        .value_kind:     hidden_global_offset_z
      - .offset:         64
        .size:           2
        .value_kind:     hidden_grid_dims
    .group_segment_fixed_size: 0
    .kernarg_segment_align: 8
    .kernarg_segment_size: 256
    .language:       OpenCL C
    .language_version:
      - 2
      - 0
    .max_flat_workgroup_size: 1024
    .name:           _Z7step_5av
    .private_segment_fixed_size: 0
    .sgpr_count:     11
    .sgpr_spill_count: 0
    .symbol:         _Z7step_5av.kd
    .uniform_work_group_size: 1
    .uses_dynamic_stack: false
    .vgpr_count:     7
    .vgpr_spill_count: 0
    .wavefront_size: 64
  - .args:
      - .offset:         0
        .size:           4
        .value_kind:     hidden_block_count_x
      - .offset:         4
        .size:           4
        .value_kind:     hidden_block_count_y
      - .offset:         8
        .size:           4
        .value_kind:     hidden_block_count_z
      - .offset:         12
        .size:           2
        .value_kind:     hidden_group_size_x
      - .offset:         14
        .size:           2
        .value_kind:     hidden_group_size_y
      - .offset:         16
        .size:           2
        .value_kind:     hidden_group_size_z
      - .offset:         18
        .size:           2
        .value_kind:     hidden_remainder_x
      - .offset:         20
        .size:           2
        .value_kind:     hidden_remainder_y
      - .offset:         22
        .size:           2
        .value_kind:     hidden_remainder_z
      - .offset:         40
        .size:           8
        .value_kind:     hidden_global_offset_x
      - .offset:         48
        .size:           8
        .value_kind:     hidden_global_offset_y
      - .offset:         56
        .size:           8
        .value_kind:     hidden_global_offset_z
      - .offset:         64
        .size:           2
        .value_kind:     hidden_grid_dims
    .group_segment_fixed_size: 0
    .kernarg_segment_align: 8
    .kernarg_segment_size: 256
    .language:       OpenCL C
    .language_version:
      - 2
      - 0
    .max_flat_workgroup_size: 1024
    .name:           _Z7step_5bv
    .private_segment_fixed_size: 0
    .sgpr_count:     11
    .sgpr_spill_count: 0
    .symbol:         _Z7step_5bv.kd
    .uniform_work_group_size: 1
    .uses_dynamic_stack: false
    .vgpr_count:     9
    .vgpr_spill_count: 0
    .wavefront_size: 64
  - .args:
      - .offset:         0
        .size:           4
        .value_kind:     hidden_block_count_x
      - .offset:         4
        .size:           4
        .value_kind:     hidden_block_count_y
      - .offset:         8
        .size:           4
        .value_kind:     hidden_block_count_z
      - .offset:         12
        .size:           2
        .value_kind:     hidden_group_size_x
      - .offset:         14
        .size:           2
        .value_kind:     hidden_group_size_y
      - .offset:         16
        .size:           2
        .value_kind:     hidden_group_size_z
      - .offset:         18
        .size:           2
        .value_kind:     hidden_remainder_x
      - .offset:         20
        .size:           2
        .value_kind:     hidden_remainder_y
      - .offset:         22
        .size:           2
        .value_kind:     hidden_remainder_z
      - .offset:         40
        .size:           8
        .value_kind:     hidden_global_offset_x
      - .offset:         48
        .size:           8
        .value_kind:     hidden_global_offset_y
      - .offset:         56
        .size:           8
        .value_kind:     hidden_global_offset_z
      - .offset:         64
        .size:           2
        .value_kind:     hidden_grid_dims
    .group_segment_fixed_size: 0
    .kernarg_segment_align: 8
    .kernarg_segment_size: 256
    .language:       OpenCL C
    .language_version:
      - 2
      - 0
    .max_flat_workgroup_size: 1024
    .name:           _Z14step_6_add_subv
    .private_segment_fixed_size: 0
    .sgpr_count:     11
    .sgpr_spill_count: 0
    .symbol:         _Z14step_6_add_subv.kd
    .uniform_work_group_size: 1
    .uses_dynamic_stack: false
    .vgpr_count:     4
    .vgpr_spill_count: 0
    .wavefront_size: 64
  - .args:
      - .offset:         0
        .size:           4
        .value_kind:     hidden_block_count_x
      - .offset:         4
        .size:           4
        .value_kind:     hidden_block_count_y
      - .offset:         8
        .size:           4
        .value_kind:     hidden_block_count_z
      - .offset:         12
        .size:           2
        .value_kind:     hidden_group_size_x
      - .offset:         14
        .size:           2
        .value_kind:     hidden_group_size_y
      - .offset:         16
        .size:           2
        .value_kind:     hidden_group_size_z
      - .offset:         18
        .size:           2
        .value_kind:     hidden_remainder_x
      - .offset:         20
        .size:           2
        .value_kind:     hidden_remainder_y
      - .offset:         22
        .size:           2
        .value_kind:     hidden_remainder_z
      - .offset:         40
        .size:           8
        .value_kind:     hidden_global_offset_x
      - .offset:         48
        .size:           8
        .value_kind:     hidden_global_offset_y
      - .offset:         56
        .size:           8
        .value_kind:     hidden_global_offset_z
      - .offset:         64
        .size:           2
        .value_kind:     hidden_grid_dims
      - .offset:         120
        .size:           4
        .value_kind:     hidden_dynamic_lds_size
    .group_segment_fixed_size: 0
    .kernarg_segment_align: 8
    .kernarg_segment_size: 256
    .language:       OpenCL C
    .language_version:
      - 2
      - 0
    .max_flat_workgroup_size: 1024
    .name:           _Z18min_reduce_kernel1v
    .private_segment_fixed_size: 0
    .sgpr_count:     20
    .sgpr_spill_count: 0
    .symbol:         _Z18min_reduce_kernel1v.kd
    .uniform_work_group_size: 1
    .uses_dynamic_stack: false
    .vgpr_count:     9
    .vgpr_spill_count: 0
    .wavefront_size: 64
  - .args:           []
    .group_segment_fixed_size: 0
    .kernarg_segment_align: 4
    .kernarg_segment_size: 0
    .language:       OpenCL C
    .language_version:
      - 2
      - 0
    .max_flat_workgroup_size: 1024
    .name:           _Z18min_reduce_kernel2v
    .private_segment_fixed_size: 0
    .sgpr_count:     10
    .sgpr_spill_count: 0
    .symbol:         _Z18min_reduce_kernel2v.kd
    .uniform_work_group_size: 1
    .uses_dynamic_stack: false
    .vgpr_count:     7
    .vgpr_spill_count: 0
    .wavefront_size: 64
amdhsa.target:   amdgcn-amd-amdhsa--gfx906
amdhsa.version:
  - 1
  - 2
...

	.end_amdgpu_metadata
